;; amdgpu-corpus repo=vllm-project/vllm kind=compiled arch=gfx1100 opt=O3
	.text
	.amdgcn_target "amdgcn-amd-amdhsa--gfx1100"
	.amdhsa_code_object_version 6
	.section	.text._Z23fp32_router_gemm_kernelIfLi128ELi1ELi256ELi3072EEvPfPKT_PKf,"axG",@progbits,_Z23fp32_router_gemm_kernelIfLi128ELi1ELi256ELi3072EEvPfPKT_PKf,comdat
	.protected	_Z23fp32_router_gemm_kernelIfLi128ELi1ELi256ELi3072EEvPfPKT_PKf ; -- Begin function _Z23fp32_router_gemm_kernelIfLi128ELi1ELi256ELi3072EEvPfPKT_PKf
	.globl	_Z23fp32_router_gemm_kernelIfLi128ELi1ELi256ELi3072EEvPfPKT_PKf
	.p2align	8
	.type	_Z23fp32_router_gemm_kernelIfLi128ELi1ELi256ELi3072EEvPfPKT_PKf,@function
_Z23fp32_router_gemm_kernelIfLi128ELi1ELi256ELi3072EEvPfPKT_PKf: ; @_Z23fp32_router_gemm_kernelIfLi128ELi1ELi256ELi3072EEvPfPKT_PKf
; %bb.0:
	s_clause 0x1
	s_load_b64 s[6:7], s[0:1], 0x10
	s_load_b128 s[0:3], s[0:1], 0x0
	s_mul_i32 s8, s15, 0xc00
	v_lshlrev_b32_e32 v17, 4, v0
	s_ashr_i32 s9, s8, 31
	s_mov_b32 s4, s15
	s_lshl_b64 s[8:9], s[8:9], 2
	s_waitcnt lgkmcnt(0)
	s_add_u32 s6, s6, s8
	s_addc_u32 s7, s7, s9
	s_clause 0x3
	global_load_b128 v[1:4], v17, s[6:7]
	global_load_b128 v[5:8], v17, s[2:3]
	global_load_b128 v[9:12], v17, s[2:3] offset:2048
	global_load_b128 v[13:16], v17, s[6:7] offset:2048
	s_waitcnt vmcnt(2)
	v_mul_f32_e32 v2, v6, v2
	v_add_co_u32 v41, s2, s2, v17
	s_delay_alu instid0(VALU_DEP_1) | instskip(SKIP_1) | instid1(VALU_DEP_1)
	v_add_co_ci_u32_e64 v42, null, s3, 0, s2
	v_add_co_u32 v43, s2, s6, v17
	v_add_co_ci_u32_e64 v44, null, s7, 0, s2
	s_delay_alu instid0(VALU_DEP_4) | instskip(NEXT) | instid1(VALU_DEP_4)
	v_add_co_u32 v33, vcc_lo, v41, 0x2000
	v_add_co_ci_u32_e32 v34, vcc_lo, 0, v42, vcc_lo
	s_delay_alu instid0(VALU_DEP_4) | instskip(NEXT) | instid1(VALU_DEP_4)
	v_add_co_u32 v37, vcc_lo, v43, 0x2000
	v_add_co_ci_u32_e32 v38, vcc_lo, 0, v44, vcc_lo
	v_add_co_u32 v25, vcc_lo, 0x1000, v41
	v_add_co_ci_u32_e32 v26, vcc_lo, 0, v42, vcc_lo
	v_add_co_u32 v29, vcc_lo, 0x1000, v43
	v_add_co_ci_u32_e32 v30, vcc_lo, 0, v44, vcc_lo
	v_add_co_u32 v41, vcc_lo, 0x2000, v41
	v_add_co_ci_u32_e32 v42, vcc_lo, 0, v42, vcc_lo
	v_add_co_u32 v45, vcc_lo, 0x2000, v43
	v_add_co_ci_u32_e32 v46, vcc_lo, 0, v44, vcc_lo
	global_load_b128 v[17:20], v[33:34], off offset:-4096
	global_load_b128 v[21:24], v[37:38], off offset:-4096
	global_load_b128 v[25:28], v[25:26], off offset:2048
	global_load_b128 v[29:32], v[29:30], off offset:2048
	global_load_b128 v[33:36], v[33:34], off
	global_load_b128 v[37:40], v[37:38], off
	global_load_b128 v[41:44], v[41:42], off offset:2048
	global_load_b128 v[45:48], v[45:46], off offset:2048
	v_mul_f32_e32 v1, v5, v1
	v_mul_f32_e32 v3, v7, v3
	s_mov_b32 s2, exec_lo
	s_delay_alu instid0(VALU_DEP_2) | instskip(NEXT) | instid1(VALU_DEP_1)
	v_add_f32_e32 v1, 0, v1
	v_dual_add_f32 v1, v1, v2 :: v_dual_mul_f32 v2, v8, v4
	s_delay_alu instid0(VALU_DEP_1) | instskip(SKIP_2) | instid1(VALU_DEP_2)
	v_add_f32_e32 v1, v1, v3
	s_waitcnt vmcnt(8)
	v_mul_f32_e32 v3, v9, v13
	v_add_f32_e32 v1, v1, v2
	s_delay_alu instid0(VALU_DEP_1) | instskip(SKIP_1) | instid1(VALU_DEP_2)
	v_dual_mul_f32 v2, v10, v14 :: v_dual_add_f32 v1, v1, v3
	v_mul_f32_e32 v3, v11, v15
	v_dual_add_f32 v1, v1, v2 :: v_dual_mul_f32 v2, v12, v16
	s_delay_alu instid0(VALU_DEP_1) | instskip(SKIP_2) | instid1(VALU_DEP_2)
	v_add_f32_e32 v1, v1, v3
	s_waitcnt vmcnt(0)
	v_dual_mul_f32 v3, v17, v21 :: v_dual_mul_f32 v4, v42, v46
	v_add_f32_e32 v1, v1, v2
	v_dual_mul_f32 v2, v18, v22 :: v_dual_mul_f32 v5, v43, v47
	s_delay_alu instid0(VALU_DEP_2) | instskip(SKIP_1) | instid1(VALU_DEP_2)
	v_add_f32_e32 v1, v1, v3
	v_mul_f32_e32 v3, v19, v23
	v_dual_add_f32 v1, v1, v2 :: v_dual_mul_f32 v2, v20, v24
	s_delay_alu instid0(VALU_DEP_1) | instskip(SKIP_1) | instid1(VALU_DEP_2)
	v_add_f32_e32 v1, v1, v3
	v_mul_f32_e32 v3, v25, v29
	v_add_f32_e32 v1, v1, v2
	s_delay_alu instid0(VALU_DEP_1) | instskip(SKIP_1) | instid1(VALU_DEP_2)
	v_dual_mul_f32 v2, v26, v30 :: v_dual_add_f32 v1, v1, v3
	v_mul_f32_e32 v3, v27, v31
	v_dual_add_f32 v1, v1, v2 :: v_dual_mul_f32 v2, v28, v32
	s_delay_alu instid0(VALU_DEP_1) | instskip(SKIP_1) | instid1(VALU_DEP_2)
	v_add_f32_e32 v1, v1, v3
	v_mul_f32_e32 v3, v33, v37
	v_add_f32_e32 v1, v1, v2
	s_delay_alu instid0(VALU_DEP_1) | instskip(SKIP_1) | instid1(VALU_DEP_2)
	v_dual_mul_f32 v2, v34, v38 :: v_dual_add_f32 v1, v1, v3
	v_mul_f32_e32 v3, v35, v39
	v_dual_add_f32 v1, v1, v2 :: v_dual_mul_f32 v2, v36, v40
	s_delay_alu instid0(VALU_DEP_1) | instskip(SKIP_1) | instid1(VALU_DEP_2)
	v_add_f32_e32 v1, v1, v3
	v_mul_f32_e32 v3, v41, v45
	v_add_f32_e32 v1, v1, v2
	v_mbcnt_lo_u32_b32 v2, -1, 0
	s_delay_alu instid0(VALU_DEP_2) | instskip(NEXT) | instid1(VALU_DEP_2)
	v_add_f32_e32 v1, v1, v3
	v_xor_b32_e32 v3, 16, v2
	s_delay_alu instid0(VALU_DEP_2) | instskip(NEXT) | instid1(VALU_DEP_2)
	v_add_f32_e32 v1, v1, v4
	v_cmp_gt_i32_e32 vcc_lo, 32, v3
	s_delay_alu instid0(VALU_DEP_2) | instskip(SKIP_1) | instid1(VALU_DEP_2)
	v_dual_mul_f32 v4, v44, v48 :: v_dual_add_f32 v1, v1, v5
	v_cndmask_b32_e32 v3, v2, v3, vcc_lo
	v_add_f32_e32 v1, v1, v4
	s_delay_alu instid0(VALU_DEP_2)
	v_lshlrev_b32_e32 v3, 2, v3
	v_xor_b32_e32 v4, 8, v2
	ds_bpermute_b32 v3, v3, v1
	v_cmp_gt_i32_e32 vcc_lo, 32, v4
	v_cndmask_b32_e32 v4, v2, v4, vcc_lo
	s_waitcnt lgkmcnt(0)
	s_delay_alu instid0(VALU_DEP_1) | instskip(SKIP_2) | instid1(VALU_DEP_1)
	v_dual_add_f32 v1, v1, v3 :: v_dual_lshlrev_b32 v4, 2, v4
	ds_bpermute_b32 v3, v4, v1
	v_xor_b32_e32 v4, 4, v2
	v_cmp_gt_i32_e32 vcc_lo, 32, v4
	v_cndmask_b32_e32 v4, v2, v4, vcc_lo
	s_waitcnt lgkmcnt(0)
	s_delay_alu instid0(VALU_DEP_1) | instskip(SKIP_2) | instid1(VALU_DEP_1)
	v_dual_add_f32 v1, v1, v3 :: v_dual_lshlrev_b32 v4, 2, v4
	ds_bpermute_b32 v3, v4, v1
	v_xor_b32_e32 v4, 2, v2
	;; [unrolled: 7-line block ×3, first 2 shown]
	v_cmp_gt_i32_e32 vcc_lo, 32, v4
	v_cndmask_b32_e32 v2, v2, v4, vcc_lo
	s_waitcnt lgkmcnt(0)
	s_delay_alu instid0(VALU_DEP_1)
	v_dual_add_f32 v1, v1, v3 :: v_dual_lshlrev_b32 v2, 2, v2
	v_and_b32_e32 v3, 31, v0
	ds_bpermute_b32 v2, v2, v1
	v_cmpx_eq_u32_e32 0, v3
	s_cbranch_execz .LBB0_2
; %bb.1:
	v_lshrrev_b32_e32 v3, 3, v0
	s_waitcnt lgkmcnt(0)
	v_add_f32_e32 v1, v1, v2
	ds_store_b32 v3, v1
.LBB0_2:
	s_or_b32 exec_lo, exec_lo, s2
	s_waitcnt lgkmcnt(0)
	s_barrier
	buffer_gl0_inv
	s_mov_b32 s2, exec_lo
	v_cmpx_eq_u32_e32 0, v0
	s_cbranch_execz .LBB0_4
; %bb.3:
	v_mov_b32_e32 v4, 0
	s_ashr_i32 s5, s4, 31
	s_delay_alu instid0(SALU_CYCLE_1) | instskip(NEXT) | instid1(SALU_CYCLE_1)
	s_lshl_b64 s[2:3], s[4:5], 2
	s_add_u32 s0, s0, s2
	ds_load_b128 v[0:3], v4
	s_addc_u32 s1, s1, s3
	s_waitcnt lgkmcnt(0)
	v_add_f32_e32 v0, 0, v0
	s_delay_alu instid0(VALU_DEP_1) | instskip(NEXT) | instid1(VALU_DEP_1)
	v_add_f32_e32 v0, v0, v1
	v_add_f32_e32 v0, v0, v2
	s_delay_alu instid0(VALU_DEP_1)
	v_add_f32_e32 v0, v0, v3
	global_store_b32 v4, v0, s[0:1]
.LBB0_4:
	s_nop 0
	s_sendmsg sendmsg(MSG_DEALLOC_VGPRS)
	s_endpgm
	.section	.rodata,"a",@progbits
	.p2align	6, 0x0
	.amdhsa_kernel _Z23fp32_router_gemm_kernelIfLi128ELi1ELi256ELi3072EEvPfPKT_PKf
		.amdhsa_group_segment_fixed_size 16
		.amdhsa_private_segment_fixed_size 0
		.amdhsa_kernarg_size 24
		.amdhsa_user_sgpr_count 15
		.amdhsa_user_sgpr_dispatch_ptr 0
		.amdhsa_user_sgpr_queue_ptr 0
		.amdhsa_user_sgpr_kernarg_segment_ptr 1
		.amdhsa_user_sgpr_dispatch_id 0
		.amdhsa_user_sgpr_private_segment_size 0
		.amdhsa_wavefront_size32 1
		.amdhsa_uses_dynamic_stack 0
		.amdhsa_enable_private_segment 0
		.amdhsa_system_sgpr_workgroup_id_x 1
		.amdhsa_system_sgpr_workgroup_id_y 0
		.amdhsa_system_sgpr_workgroup_id_z 0
		.amdhsa_system_sgpr_workgroup_info 0
		.amdhsa_system_vgpr_workitem_id 0
		.amdhsa_next_free_vgpr 49
		.amdhsa_next_free_sgpr 16
		.amdhsa_reserve_vcc 1
		.amdhsa_float_round_mode_32 0
		.amdhsa_float_round_mode_16_64 0
		.amdhsa_float_denorm_mode_32 3
		.amdhsa_float_denorm_mode_16_64 3
		.amdhsa_dx10_clamp 1
		.amdhsa_ieee_mode 1
		.amdhsa_fp16_overflow 0
		.amdhsa_workgroup_processor_mode 1
		.amdhsa_memory_ordered 1
		.amdhsa_forward_progress 0
		.amdhsa_shared_vgpr_count 0
		.amdhsa_exception_fp_ieee_invalid_op 0
		.amdhsa_exception_fp_denorm_src 0
		.amdhsa_exception_fp_ieee_div_zero 0
		.amdhsa_exception_fp_ieee_overflow 0
		.amdhsa_exception_fp_ieee_underflow 0
		.amdhsa_exception_fp_ieee_inexact 0
		.amdhsa_exception_int_div_zero 0
	.end_amdhsa_kernel
	.section	.text._Z23fp32_router_gemm_kernelIfLi128ELi1ELi256ELi3072EEvPfPKT_PKf,"axG",@progbits,_Z23fp32_router_gemm_kernelIfLi128ELi1ELi256ELi3072EEvPfPKT_PKf,comdat
.Lfunc_end0:
	.size	_Z23fp32_router_gemm_kernelIfLi128ELi1ELi256ELi3072EEvPfPKT_PKf, .Lfunc_end0-_Z23fp32_router_gemm_kernelIfLi128ELi1ELi256ELi3072EEvPfPKT_PKf
                                        ; -- End function
	.section	.AMDGPU.csdata,"",@progbits
; Kernel info:
; codeLenInByte = 880
; NumSgprs: 18
; NumVgprs: 49
; ScratchSize: 0
; MemoryBound: 0
; FloatMode: 240
; IeeeMode: 1
; LDSByteSize: 16 bytes/workgroup (compile time only)
; SGPRBlocks: 2
; VGPRBlocks: 6
; NumSGPRsForWavesPerEU: 18
; NumVGPRsForWavesPerEU: 49
; Occupancy: 16
; WaveLimiterHint : 0
; COMPUTE_PGM_RSRC2:SCRATCH_EN: 0
; COMPUTE_PGM_RSRC2:USER_SGPR: 15
; COMPUTE_PGM_RSRC2:TRAP_HANDLER: 0
; COMPUTE_PGM_RSRC2:TGID_X_EN: 1
; COMPUTE_PGM_RSRC2:TGID_Y_EN: 0
; COMPUTE_PGM_RSRC2:TGID_Z_EN: 0
; COMPUTE_PGM_RSRC2:TIDIG_COMP_CNT: 0
	.section	.text._Z23fp32_router_gemm_kernelIfLi128ELi2ELi256ELi3072EEvPfPKT_PKf,"axG",@progbits,_Z23fp32_router_gemm_kernelIfLi128ELi2ELi256ELi3072EEvPfPKT_PKf,comdat
	.protected	_Z23fp32_router_gemm_kernelIfLi128ELi2ELi256ELi3072EEvPfPKT_PKf ; -- Begin function _Z23fp32_router_gemm_kernelIfLi128ELi2ELi256ELi3072EEvPfPKT_PKf
	.globl	_Z23fp32_router_gemm_kernelIfLi128ELi2ELi256ELi3072EEvPfPKT_PKf
	.p2align	8
	.type	_Z23fp32_router_gemm_kernelIfLi128ELi2ELi256ELi3072EEvPfPKT_PKf,@function
_Z23fp32_router_gemm_kernelIfLi128ELi2ELi256ELi3072EEvPfPKT_PKf: ; @_Z23fp32_router_gemm_kernelIfLi128ELi2ELi256ELi3072EEvPfPKT_PKf
; %bb.0:
	s_clause 0x1
	s_load_b64 s[6:7], s[0:1], 0x10
	s_load_b128 s[0:3], s[0:1], 0x0
	s_mul_i32 s8, s15, 0xc00
	v_lshlrev_b32_e32 v9, 4, v0
	s_ashr_i32 s9, s8, 31
	s_mov_b32 s4, s15
	s_lshl_b64 s[8:9], s[8:9], 2
	s_waitcnt lgkmcnt(0)
	s_add_u32 s6, s6, s8
	s_addc_u32 s7, s7, s9
	s_clause 0x3
	global_load_b128 v[1:4], v9, s[6:7]
	global_load_b128 v[49:52], v9, s[2:3]
	global_load_b128 v[53:56], v9, s[2:3] offset:2048
	global_load_b128 v[5:8], v9, s[6:7] offset:2048
	v_add_co_u32 v25, s2, s2, v9
	s_delay_alu instid0(VALU_DEP_1) | instskip(SKIP_1) | instid1(VALU_DEP_1)
	v_add_co_ci_u32_e64 v26, null, s3, 0, s2
	v_add_co_u32 v23, s2, s6, v9
	v_add_co_ci_u32_e64 v24, null, s7, 0, s2
	s_delay_alu instid0(VALU_DEP_4) | instskip(NEXT) | instid1(VALU_DEP_4)
	v_add_co_u32 v17, vcc_lo, v25, 0x2000
	v_add_co_ci_u32_e32 v18, vcc_lo, 0, v26, vcc_lo
	s_delay_alu instid0(VALU_DEP_4) | instskip(NEXT) | instid1(VALU_DEP_4)
	v_add_co_u32 v19, vcc_lo, v23, 0x2000
	v_add_co_ci_u32_e32 v20, vcc_lo, 0, v24, vcc_lo
	global_load_b128 v[57:60], v[17:18], off offset:-4096
	global_load_b128 v[9:12], v[19:20], off offset:-4096
	v_add_co_u32 v13, vcc_lo, 0x1000, v25
	v_add_co_ci_u32_e32 v14, vcc_lo, 0, v26, vcc_lo
	v_add_co_u32 v15, vcc_lo, 0x1000, v23
	v_add_co_ci_u32_e32 v16, vcc_lo, 0, v24, vcc_lo
	global_load_b128 v[61:64], v[13:14], off offset:2048
	global_load_b128 v[13:16], v[15:16], off offset:2048
	global_load_b128 v[65:68], v[17:18], off
	global_load_b128 v[17:20], v[19:20], off
	v_add_co_u32 v21, vcc_lo, 0x2000, v25
	v_add_co_ci_u32_e32 v22, vcc_lo, 0, v26, vcc_lo
	v_add_co_u32 v23, vcc_lo, 0x2000, v23
	v_add_co_ci_u32_e32 v24, vcc_lo, 0, v24, vcc_lo
	global_load_b128 v[69:72], v[21:22], off offset:2048
	global_load_b128 v[21:24], v[23:24], off offset:2048
	v_add_co_u32 v29, vcc_lo, 0x5000, v25
	v_add_co_ci_u32_e32 v30, vcc_lo, 0, v26, vcc_lo
	v_add_co_u32 v31, vcc_lo, 0x3000, v25
	v_add_co_ci_u32_e32 v32, vcc_lo, 0, v26, vcc_lo
	;; [unrolled: 2-line block ×4, first 2 shown]
	s_clause 0x5
	global_load_b128 v[25:28], v[29:30], off
	global_load_b128 v[41:44], v[31:32], off offset:2048
	global_load_b128 v[37:40], v[45:46], off
	global_load_b128 v[33:36], v[33:34], off offset:2048
	global_load_b128 v[45:48], v[45:46], off offset:-4096
	global_load_b128 v[29:32], v[29:30], off offset:2048
	s_waitcnt vmcnt(16)
	v_fma_f32 v73, v49, v1, 0
	s_delay_alu instid0(VALU_DEP_1) | instskip(NEXT) | instid1(VALU_DEP_1)
	v_fmac_f32_e32 v73, v50, v2
	v_fmac_f32_e32 v73, v51, v3
	s_delay_alu instid0(VALU_DEP_1) | instskip(SKIP_1) | instid1(VALU_DEP_1)
	v_fmac_f32_e32 v73, v52, v4
	s_waitcnt vmcnt(14)
	v_fmac_f32_e32 v73, v53, v5
	v_mbcnt_lo_u32_b32 v53, -1, 0
	s_delay_alu instid0(VALU_DEP_2) | instskip(NEXT) | instid1(VALU_DEP_2)
	v_fmac_f32_e32 v73, v54, v6
	v_xor_b32_e32 v49, 16, v53
	v_xor_b32_e32 v50, 8, v53
	s_delay_alu instid0(VALU_DEP_3) | instskip(NEXT) | instid1(VALU_DEP_3)
	v_fmac_f32_e32 v73, v55, v7
	v_cmp_gt_i32_e32 vcc_lo, 32, v49
	s_delay_alu instid0(VALU_DEP_2) | instskip(SKIP_3) | instid1(VALU_DEP_3)
	v_fmac_f32_e32 v73, v56, v8
	v_cndmask_b32_e32 v49, v53, v49, vcc_lo
	v_cmp_gt_i32_e32 vcc_lo, 32, v50
	s_waitcnt vmcnt(12)
	v_fmac_f32_e32 v73, v57, v9
	v_lshrrev_b32_e32 v57, 5, v0
	v_cndmask_b32_e32 v50, v53, v50, vcc_lo
	s_delay_alu instid0(VALU_DEP_3) | instskip(NEXT) | instid1(VALU_DEP_1)
	v_fmac_f32_e32 v73, v58, v10
	v_dual_fmac_f32 v73, v59, v11 :: v_dual_lshlrev_b32 v50, 2, v50
	s_delay_alu instid0(VALU_DEP_1) | instskip(SKIP_1) | instid1(VALU_DEP_1)
	v_fmac_f32_e32 v73, v60, v12
	s_waitcnt vmcnt(10)
	v_fmac_f32_e32 v73, v61, v13
	s_delay_alu instid0(VALU_DEP_1) | instskip(NEXT) | instid1(VALU_DEP_1)
	v_fmac_f32_e32 v73, v62, v14
	v_fmac_f32_e32 v73, v63, v15
	s_delay_alu instid0(VALU_DEP_1) | instskip(SKIP_1) | instid1(VALU_DEP_1)
	v_fmac_f32_e32 v73, v64, v16
	s_waitcnt vmcnt(8)
	v_fmac_f32_e32 v73, v65, v17
	s_delay_alu instid0(VALU_DEP_1) | instskip(NEXT) | instid1(VALU_DEP_1)
	v_fmac_f32_e32 v73, v66, v18
	v_fmac_f32_e32 v73, v67, v19
	;; [unrolled: 7-line block ×3, first 2 shown]
	s_delay_alu instid0(VALU_DEP_1)
	v_fmac_f32_e32 v73, v72, v24
	v_lshlrev_b32_e32 v49, 2, v49
	ds_bpermute_b32 v51, v49, v73
	s_waitcnt lgkmcnt(0)
	v_add_f32_e32 v52, v73, v51
	v_xor_b32_e32 v51, 4, v53
	ds_bpermute_b32 v54, v50, v52
	v_cmp_gt_i32_e32 vcc_lo, 32, v51
	v_cndmask_b32_e32 v51, v53, v51, vcc_lo
	s_waitcnt lgkmcnt(0)
	s_delay_alu instid0(VALU_DEP_1)
	v_dual_add_f32 v54, v52, v54 :: v_dual_lshlrev_b32 v51, 2, v51
	v_xor_b32_e32 v52, 2, v53
	ds_bpermute_b32 v55, v51, v54
	v_cmp_gt_i32_e32 vcc_lo, 32, v52
	v_cndmask_b32_e32 v52, v53, v52, vcc_lo
	s_waitcnt lgkmcnt(0)
	s_delay_alu instid0(VALU_DEP_1) | instskip(SKIP_4) | instid1(VALU_DEP_1)
	v_dual_add_f32 v55, v54, v55 :: v_dual_lshlrev_b32 v52, 2, v52
	v_xor_b32_e32 v54, 1, v53
	ds_bpermute_b32 v56, v52, v55
	v_cmp_gt_i32_e32 vcc_lo, 32, v54
	v_cndmask_b32_e32 v53, v53, v54, vcc_lo
	v_lshlrev_b32_e32 v54, 2, v53
	v_and_b32_e32 v53, 31, v0
	s_delay_alu instid0(VALU_DEP_1)
	v_cmp_eq_u32_e32 vcc_lo, 0, v53
	v_lshlrev_b32_e32 v53, 2, v57
	s_waitcnt lgkmcnt(0)
	v_add_f32_e32 v55, v55, v56
	ds_bpermute_b32 v56, v54, v55
	s_and_saveexec_b32 s2, vcc_lo
	s_cbranch_execz .LBB1_2
; %bb.1:
	s_waitcnt lgkmcnt(0)
	v_add_f32_e32 v55, v55, v56
	ds_store_b32 v53, v55
.LBB1_2:
	s_or_b32 exec_lo, exec_lo, s2
	s_waitcnt vmcnt(1)
	v_fma_f32 v1, v45, v1, 0
	s_delay_alu instid0(VALU_DEP_1) | instskip(NEXT) | instid1(VALU_DEP_1)
	v_fmac_f32_e32 v1, v46, v2
	v_fmac_f32_e32 v1, v47, v3
	s_delay_alu instid0(VALU_DEP_1) | instskip(NEXT) | instid1(VALU_DEP_1)
	v_fmac_f32_e32 v1, v48, v4
	v_fmac_f32_e32 v1, v41, v5
	;; [unrolled: 3-line block ×9, first 2 shown]
	s_delay_alu instid0(VALU_DEP_1) | instskip(SKIP_1) | instid1(VALU_DEP_1)
	v_fmac_f32_e32 v1, v28, v20
	s_waitcnt vmcnt(0)
	v_fmac_f32_e32 v1, v29, v21
	s_delay_alu instid0(VALU_DEP_1) | instskip(NEXT) | instid1(VALU_DEP_1)
	v_fmac_f32_e32 v1, v30, v22
	v_fmac_f32_e32 v1, v31, v23
	s_delay_alu instid0(VALU_DEP_1)
	v_fmac_f32_e32 v1, v32, v24
	ds_bpermute_b32 v2, v49, v1
	s_waitcnt lgkmcnt(0)
	v_add_f32_e32 v1, v1, v2
	ds_bpermute_b32 v2, v50, v1
	s_waitcnt lgkmcnt(0)
	v_add_f32_e32 v1, v1, v2
	;; [unrolled: 3-line block ×4, first 2 shown]
	ds_bpermute_b32 v2, v54, v1
	s_and_saveexec_b32 s2, vcc_lo
	s_cbranch_execz .LBB1_4
; %bb.3:
	s_waitcnt lgkmcnt(0)
	v_add_f32_e32 v1, v1, v2
	ds_store_b32 v53, v1 offset:16
.LBB1_4:
	s_or_b32 exec_lo, exec_lo, s2
	s_waitcnt lgkmcnt(0)
	s_barrier
	buffer_gl0_inv
	s_mov_b32 s2, exec_lo
	v_cmpx_eq_u32_e32 0, v0
	s_cbranch_execz .LBB1_6
; %bb.5:
	v_mov_b32_e32 v8, 0
	s_ashr_i32 s5, s4, 31
	ds_load_b128 v[0:3], v8
	ds_load_b128 v[4:7], v8 offset:16
	s_lshl_b64 s[2:3], s[4:5], 2
	s_delay_alu instid0(SALU_CYCLE_1)
	s_add_u32 s0, s0, s2
	s_addc_u32 s1, s1, s3
	s_waitcnt lgkmcnt(1)
	v_add_f32_e32 v0, 0, v0
	s_waitcnt lgkmcnt(0)
	v_add_f32_e32 v4, 0, v4
	s_delay_alu instid0(VALU_DEP_2) | instskip(NEXT) | instid1(VALU_DEP_2)
	v_add_f32_e32 v0, v0, v1
	v_add_f32_e32 v1, v4, v5
	s_delay_alu instid0(VALU_DEP_2) | instskip(NEXT) | instid1(VALU_DEP_1)
	v_add_f32_e32 v0, v0, v2
	v_dual_add_f32 v1, v1, v6 :: v_dual_add_f32 v0, v0, v3
	s_delay_alu instid0(VALU_DEP_1)
	v_add_f32_e32 v1, v1, v7
	s_clause 0x1
	global_store_b32 v8, v0, s[0:1]
	global_store_b32 v8, v1, s[0:1] offset:1024
.LBB1_6:
	s_nop 0
	s_sendmsg sendmsg(MSG_DEALLOC_VGPRS)
	s_endpgm
	.section	.rodata,"a",@progbits
	.p2align	6, 0x0
	.amdhsa_kernel _Z23fp32_router_gemm_kernelIfLi128ELi2ELi256ELi3072EEvPfPKT_PKf
		.amdhsa_group_segment_fixed_size 32
		.amdhsa_private_segment_fixed_size 0
		.amdhsa_kernarg_size 24
		.amdhsa_user_sgpr_count 15
		.amdhsa_user_sgpr_dispatch_ptr 0
		.amdhsa_user_sgpr_queue_ptr 0
		.amdhsa_user_sgpr_kernarg_segment_ptr 1
		.amdhsa_user_sgpr_dispatch_id 0
		.amdhsa_user_sgpr_private_segment_size 0
		.amdhsa_wavefront_size32 1
		.amdhsa_uses_dynamic_stack 0
		.amdhsa_enable_private_segment 0
		.amdhsa_system_sgpr_workgroup_id_x 1
		.amdhsa_system_sgpr_workgroup_id_y 0
		.amdhsa_system_sgpr_workgroup_id_z 0
		.amdhsa_system_sgpr_workgroup_info 0
		.amdhsa_system_vgpr_workitem_id 0
		.amdhsa_next_free_vgpr 74
		.amdhsa_next_free_sgpr 16
		.amdhsa_reserve_vcc 1
		.amdhsa_float_round_mode_32 0
		.amdhsa_float_round_mode_16_64 0
		.amdhsa_float_denorm_mode_32 3
		.amdhsa_float_denorm_mode_16_64 3
		.amdhsa_dx10_clamp 1
		.amdhsa_ieee_mode 1
		.amdhsa_fp16_overflow 0
		.amdhsa_workgroup_processor_mode 1
		.amdhsa_memory_ordered 1
		.amdhsa_forward_progress 0
		.amdhsa_shared_vgpr_count 0
		.amdhsa_exception_fp_ieee_invalid_op 0
		.amdhsa_exception_fp_denorm_src 0
		.amdhsa_exception_fp_ieee_div_zero 0
		.amdhsa_exception_fp_ieee_overflow 0
		.amdhsa_exception_fp_ieee_underflow 0
		.amdhsa_exception_fp_ieee_inexact 0
		.amdhsa_exception_int_div_zero 0
	.end_amdhsa_kernel
	.section	.text._Z23fp32_router_gemm_kernelIfLi128ELi2ELi256ELi3072EEvPfPKT_PKf,"axG",@progbits,_Z23fp32_router_gemm_kernelIfLi128ELi2ELi256ELi3072EEvPfPKT_PKf,comdat
.Lfunc_end1:
	.size	_Z23fp32_router_gemm_kernelIfLi128ELi2ELi256ELi3072EEvPfPKT_PKf, .Lfunc_end1-_Z23fp32_router_gemm_kernelIfLi128ELi2ELi256ELi3072EEvPfPKT_PKf
                                        ; -- End function
	.section	.AMDGPU.csdata,"",@progbits
; Kernel info:
; codeLenInByte = 1212
; NumSgprs: 18
; NumVgprs: 74
; ScratchSize: 0
; MemoryBound: 0
; FloatMode: 240
; IeeeMode: 1
; LDSByteSize: 32 bytes/workgroup (compile time only)
; SGPRBlocks: 2
; VGPRBlocks: 9
; NumSGPRsForWavesPerEU: 18
; NumVGPRsForWavesPerEU: 74
; Occupancy: 16
; WaveLimiterHint : 1
; COMPUTE_PGM_RSRC2:SCRATCH_EN: 0
; COMPUTE_PGM_RSRC2:USER_SGPR: 15
; COMPUTE_PGM_RSRC2:TRAP_HANDLER: 0
; COMPUTE_PGM_RSRC2:TGID_X_EN: 1
; COMPUTE_PGM_RSRC2:TGID_Y_EN: 0
; COMPUTE_PGM_RSRC2:TGID_Z_EN: 0
; COMPUTE_PGM_RSRC2:TIDIG_COMP_CNT: 0
	.section	.text._Z23fp32_router_gemm_kernelIfLi128ELi3ELi256ELi3072EEvPfPKT_PKf,"axG",@progbits,_Z23fp32_router_gemm_kernelIfLi128ELi3ELi256ELi3072EEvPfPKT_PKf,comdat
	.protected	_Z23fp32_router_gemm_kernelIfLi128ELi3ELi256ELi3072EEvPfPKT_PKf ; -- Begin function _Z23fp32_router_gemm_kernelIfLi128ELi3ELi256ELi3072EEvPfPKT_PKf
	.globl	_Z23fp32_router_gemm_kernelIfLi128ELi3ELi256ELi3072EEvPfPKT_PKf
	.p2align	8
	.type	_Z23fp32_router_gemm_kernelIfLi128ELi3ELi256ELi3072EEvPfPKT_PKf,@function
_Z23fp32_router_gemm_kernelIfLi128ELi3ELi256ELi3072EEvPfPKT_PKf: ; @_Z23fp32_router_gemm_kernelIfLi128ELi3ELi256ELi3072EEvPfPKT_PKf
; %bb.0:
	s_clause 0x1
	s_load_b64 s[6:7], s[0:1], 0x10
	s_load_b128 s[0:3], s[0:1], 0x0
	s_mul_i32 s8, s15, 0xc00
	v_lshlrev_b32_e32 v9, 4, v0
	s_ashr_i32 s9, s8, 31
	s_mov_b32 s4, s15
	s_lshl_b64 s[8:9], s[8:9], 2
	s_waitcnt lgkmcnt(0)
	s_add_u32 s6, s6, s8
	s_addc_u32 s7, s7, s9
	s_clause 0x3
	global_load_b128 v[1:4], v9, s[6:7]
	global_load_b128 v[25:28], v9, s[2:3]
	global_load_b128 v[29:32], v9, s[2:3] offset:2048
	global_load_b128 v[5:8], v9, s[6:7] offset:2048
	v_add_co_u32 v37, s2, s2, v9
	s_delay_alu instid0(VALU_DEP_1) | instskip(SKIP_1) | instid1(VALU_DEP_1)
	v_add_co_ci_u32_e64 v38, null, s3, 0, s2
	v_add_co_u32 v23, s2, s6, v9
	v_add_co_ci_u32_e64 v24, null, s7, 0, s2
	s_delay_alu instid0(VALU_DEP_4) | instskip(NEXT) | instid1(VALU_DEP_4)
	v_add_co_u32 v17, vcc_lo, v37, 0x2000
	v_add_co_ci_u32_e32 v18, vcc_lo, 0, v38, vcc_lo
	s_delay_alu instid0(VALU_DEP_4) | instskip(NEXT) | instid1(VALU_DEP_4)
	v_add_co_u32 v19, vcc_lo, v23, 0x2000
	v_add_co_ci_u32_e32 v20, vcc_lo, 0, v24, vcc_lo
	global_load_b128 v[73:76], v[17:18], off offset:-4096
	global_load_b128 v[9:12], v[19:20], off offset:-4096
	v_add_co_u32 v13, vcc_lo, 0x1000, v37
	v_add_co_ci_u32_e32 v14, vcc_lo, 0, v38, vcc_lo
	v_add_co_u32 v15, vcc_lo, 0x1000, v23
	v_add_co_ci_u32_e32 v16, vcc_lo, 0, v24, vcc_lo
	global_load_b128 v[77:80], v[13:14], off offset:2048
	global_load_b128 v[13:16], v[15:16], off offset:2048
	global_load_b128 v[81:84], v[17:18], off
	global_load_b128 v[17:20], v[19:20], off
	v_add_co_u32 v21, vcc_lo, 0x2000, v37
	v_add_co_ci_u32_e32 v22, vcc_lo, 0, v38, vcc_lo
	v_add_co_u32 v23, vcc_lo, 0x2000, v23
	v_add_co_ci_u32_e32 v24, vcc_lo, 0, v24, vcc_lo
	global_load_b128 v[85:88], v[21:22], off offset:2048
	global_load_b128 v[21:24], v[23:24], off offset:2048
	v_add_co_u32 v53, vcc_lo, 0x5000, v37
	v_add_co_ci_u32_e32 v54, vcc_lo, 0, v38, vcc_lo
	v_add_co_u32 v33, vcc_lo, 0x3000, v37
	v_add_co_ci_u32_e32 v34, vcc_lo, 0, v38, vcc_lo
	;; [unrolled: 2-line block ×4, first 2 shown]
	global_load_b128 v[49:52], v[53:54], off
	s_waitcnt vmcnt(11)
	v_fma_f32 v91, v25, v1, 0
	v_add_co_u32 v25, vcc_lo, v37, 0x7000
	s_delay_alu instid0(VALU_DEP_2) | instskip(SKIP_2) | instid1(VALU_DEP_3)
	v_fmac_f32_e32 v91, v26, v2
	v_add_co_ci_u32_e32 v26, vcc_lo, 0, v38, vcc_lo
	v_add_co_u32 v55, vcc_lo, 0x4000, v37
	v_fmac_f32_e32 v91, v27, v3
	v_add_co_ci_u32_e32 v56, vcc_lo, 0, v38, vcc_lo
	v_add_co_u32 v27, vcc_lo, 0x7000, v37
	s_delay_alu instid0(VALU_DEP_3) | instskip(SKIP_3) | instid1(VALU_DEP_3)
	v_fmac_f32_e32 v91, v28, v4
	v_add_co_ci_u32_e32 v28, vcc_lo, 0, v38, vcc_lo
	v_add_co_u32 v89, vcc_lo, 0x8000, v37
	s_waitcnt vmcnt(9)
	v_fmac_f32_e32 v91, v29, v5
	v_add_co_ci_u32_e32 v90, vcc_lo, 0, v38, vcc_lo
	s_clause 0x8
	global_load_b128 v[65:68], v[33:34], off offset:2048
	global_load_b128 v[41:44], v[35:36], off offset:2048
	global_load_b128 v[45:48], v[25:26], off offset:-4096
	global_load_b128 v[61:64], v[69:70], off
	global_load_b128 v[37:40], v[25:26], off
	global_load_b128 v[57:60], v[55:56], off offset:2048
	global_load_b128 v[33:36], v[27:28], off offset:2048
	global_load_b128 v[25:28], v[89:90], off
	global_load_b128 v[53:56], v[53:54], off offset:2048
	v_fmac_f32_e32 v91, v30, v6
	s_delay_alu instid0(VALU_DEP_1) | instskip(NEXT) | instid1(VALU_DEP_1)
	v_fmac_f32_e32 v91, v31, v7
	v_fmac_f32_e32 v91, v32, v8
	s_clause 0x1
	global_load_b128 v[69:72], v[69:70], off offset:-4096
	global_load_b128 v[29:32], v[89:90], off offset:2048
	s_waitcnt vmcnt(18)
	v_fmac_f32_e32 v91, v73, v9
	s_delay_alu instid0(VALU_DEP_1) | instskip(NEXT) | instid1(VALU_DEP_1)
	v_fmac_f32_e32 v91, v74, v10
	v_fmac_f32_e32 v91, v75, v11
	s_delay_alu instid0(VALU_DEP_1) | instskip(SKIP_1) | instid1(VALU_DEP_1)
	v_fmac_f32_e32 v91, v76, v12
	s_waitcnt vmcnt(16)
	v_fmac_f32_e32 v91, v77, v13
	v_mbcnt_lo_u32_b32 v77, -1, 0
	s_delay_alu instid0(VALU_DEP_2) | instskip(NEXT) | instid1(VALU_DEP_2)
	v_fmac_f32_e32 v91, v78, v14
	v_xor_b32_e32 v73, 16, v77
	v_xor_b32_e32 v74, 8, v77
	s_delay_alu instid0(VALU_DEP_3) | instskip(NEXT) | instid1(VALU_DEP_3)
	v_fmac_f32_e32 v91, v79, v15
	v_cmp_gt_i32_e32 vcc_lo, 32, v73
	s_delay_alu instid0(VALU_DEP_2) | instskip(SKIP_1) | instid1(VALU_DEP_1)
	v_fmac_f32_e32 v91, v80, v16
	s_waitcnt vmcnt(14)
	v_fmac_f32_e32 v91, v81, v17
	v_lshrrev_b32_e32 v81, 5, v0
	s_delay_alu instid0(VALU_DEP_2) | instskip(NEXT) | instid1(VALU_DEP_1)
	v_fmac_f32_e32 v91, v82, v18
	v_fmac_f32_e32 v91, v83, v19
	s_delay_alu instid0(VALU_DEP_1) | instskip(SKIP_1) | instid1(VALU_DEP_1)
	v_fmac_f32_e32 v91, v84, v20
	s_waitcnt vmcnt(12)
	v_fmac_f32_e32 v91, v85, v21
	s_delay_alu instid0(VALU_DEP_1) | instskip(NEXT) | instid1(VALU_DEP_1)
	v_fmac_f32_e32 v91, v86, v22
	v_fmac_f32_e32 v91, v87, v23
	s_delay_alu instid0(VALU_DEP_1) | instskip(SKIP_2) | instid1(VALU_DEP_2)
	v_fmac_f32_e32 v91, v88, v24
	v_cndmask_b32_e32 v73, v77, v73, vcc_lo
	v_cmp_gt_i32_e32 vcc_lo, 32, v74
	v_dual_cndmask_b32 v74, v77, v74 :: v_dual_lshlrev_b32 v73, 2, v73
	ds_bpermute_b32 v75, v73, v91
	v_lshlrev_b32_e32 v74, 2, v74
	s_waitcnt lgkmcnt(0)
	v_add_f32_e32 v76, v91, v75
	v_xor_b32_e32 v75, 4, v77
	ds_bpermute_b32 v78, v74, v76
	v_cmp_gt_i32_e32 vcc_lo, 32, v75
	v_cndmask_b32_e32 v75, v77, v75, vcc_lo
	s_waitcnt lgkmcnt(0)
	s_delay_alu instid0(VALU_DEP_1)
	v_dual_add_f32 v78, v76, v78 :: v_dual_lshlrev_b32 v75, 2, v75
	v_xor_b32_e32 v76, 2, v77
	ds_bpermute_b32 v79, v75, v78
	v_cmp_gt_i32_e32 vcc_lo, 32, v76
	v_cndmask_b32_e32 v76, v77, v76, vcc_lo
	s_waitcnt lgkmcnt(0)
	s_delay_alu instid0(VALU_DEP_1) | instskip(SKIP_4) | instid1(VALU_DEP_1)
	v_dual_add_f32 v79, v78, v79 :: v_dual_lshlrev_b32 v76, 2, v76
	v_xor_b32_e32 v78, 1, v77
	ds_bpermute_b32 v80, v76, v79
	v_cmp_gt_i32_e32 vcc_lo, 32, v78
	v_cndmask_b32_e32 v77, v77, v78, vcc_lo
	v_lshlrev_b32_e32 v78, 2, v77
	v_and_b32_e32 v77, 31, v0
	s_delay_alu instid0(VALU_DEP_1)
	v_cmp_eq_u32_e32 vcc_lo, 0, v77
	v_lshlrev_b32_e32 v77, 2, v81
	s_waitcnt lgkmcnt(0)
	v_add_f32_e32 v79, v79, v80
	ds_bpermute_b32 v80, v78, v79
	s_and_saveexec_b32 s2, vcc_lo
	s_cbranch_execz .LBB2_2
; %bb.1:
	s_waitcnt lgkmcnt(0)
	v_add_f32_e32 v79, v79, v80
	ds_store_b32 v77, v79
.LBB2_2:
	s_or_b32 exec_lo, exec_lo, s2
	s_waitcnt vmcnt(1)
	v_fma_f32 v69, v69, v1, 0
	s_delay_alu instid0(VALU_DEP_1) | instskip(NEXT) | instid1(VALU_DEP_1)
	v_fmac_f32_e32 v69, v70, v2
	v_fmac_f32_e32 v69, v71, v3
	s_delay_alu instid0(VALU_DEP_1) | instskip(NEXT) | instid1(VALU_DEP_1)
	v_fmac_f32_e32 v69, v72, v4
	v_fmac_f32_e32 v69, v65, v5
	;; [unrolled: 3-line block ×11, first 2 shown]
	s_delay_alu instid0(VALU_DEP_1)
	v_fmac_f32_e32 v69, v56, v24
	ds_bpermute_b32 v49, v73, v69
	s_waitcnt lgkmcnt(0)
	v_add_f32_e32 v49, v69, v49
	ds_bpermute_b32 v50, v74, v49
	s_waitcnt lgkmcnt(0)
	v_add_f32_e32 v49, v49, v50
	;; [unrolled: 3-line block ×4, first 2 shown]
	ds_bpermute_b32 v50, v78, v49
	s_and_saveexec_b32 s2, vcc_lo
	s_cbranch_execz .LBB2_4
; %bb.3:
	s_waitcnt lgkmcnt(0)
	v_add_f32_e32 v49, v49, v50
	ds_store_b32 v77, v49 offset:16
.LBB2_4:
	s_or_b32 exec_lo, exec_lo, s2
	v_fma_f32 v1, v45, v1, 0
	s_delay_alu instid0(VALU_DEP_1) | instskip(NEXT) | instid1(VALU_DEP_1)
	v_fmac_f32_e32 v1, v46, v2
	v_fmac_f32_e32 v1, v47, v3
	s_delay_alu instid0(VALU_DEP_1) | instskip(NEXT) | instid1(VALU_DEP_1)
	v_fmac_f32_e32 v1, v48, v4
	v_fmac_f32_e32 v1, v41, v5
	;; [unrolled: 3-line block ×9, first 2 shown]
	s_delay_alu instid0(VALU_DEP_1) | instskip(SKIP_1) | instid1(VALU_DEP_1)
	v_fmac_f32_e32 v1, v28, v20
	s_waitcnt vmcnt(0)
	v_fmac_f32_e32 v1, v29, v21
	s_delay_alu instid0(VALU_DEP_1) | instskip(NEXT) | instid1(VALU_DEP_1)
	v_fmac_f32_e32 v1, v30, v22
	v_fmac_f32_e32 v1, v31, v23
	s_delay_alu instid0(VALU_DEP_1)
	v_fmac_f32_e32 v1, v32, v24
	ds_bpermute_b32 v2, v73, v1
	s_waitcnt lgkmcnt(0)
	v_add_f32_e32 v1, v1, v2
	ds_bpermute_b32 v2, v74, v1
	s_waitcnt lgkmcnt(0)
	v_add_f32_e32 v1, v1, v2
	;; [unrolled: 3-line block ×4, first 2 shown]
	ds_bpermute_b32 v2, v78, v1
	s_and_saveexec_b32 s2, vcc_lo
	s_cbranch_execz .LBB2_6
; %bb.5:
	s_waitcnt lgkmcnt(0)
	v_add_f32_e32 v1, v1, v2
	ds_store_b32 v77, v1 offset:32
.LBB2_6:
	s_or_b32 exec_lo, exec_lo, s2
	s_waitcnt lgkmcnt(0)
	s_barrier
	buffer_gl0_inv
	s_mov_b32 s2, exec_lo
	v_cmpx_eq_u32_e32 0, v0
	s_cbranch_execz .LBB2_8
; %bb.7:
	v_mov_b32_e32 v12, 0
	s_ashr_i32 s5, s4, 31
	ds_load_b128 v[0:3], v12
	ds_load_b128 v[4:7], v12 offset:16
	ds_load_b128 v[8:11], v12 offset:32
	s_lshl_b64 s[2:3], s[4:5], 2
	s_delay_alu instid0(SALU_CYCLE_1)
	s_add_u32 s0, s0, s2
	s_addc_u32 s1, s1, s3
	s_waitcnt lgkmcnt(2)
	v_add_f32_e32 v0, 0, v0
	s_waitcnt lgkmcnt(1)
	v_add_f32_e32 v4, 0, v4
	;; [unrolled: 2-line block ×3, first 2 shown]
	v_add_f32_e32 v0, v0, v1
	s_delay_alu instid0(VALU_DEP_3) | instskip(NEXT) | instid1(VALU_DEP_3)
	v_add_f32_e32 v1, v4, v5
	v_add_f32_e32 v4, v8, v9
	s_delay_alu instid0(VALU_DEP_3) | instskip(NEXT) | instid1(VALU_DEP_3)
	v_add_f32_e32 v0, v0, v2
	;; [unrolled: 3-line block ×4, first 2 shown]
	v_add_f32_e32 v2, v2, v11
	s_clause 0x2
	global_store_b32 v12, v0, s[0:1]
	global_store_b32 v12, v1, s[0:1] offset:1024
	global_store_b32 v12, v2, s[0:1] offset:2048
.LBB2_8:
	s_nop 0
	s_sendmsg sendmsg(MSG_DEALLOC_VGPRS)
	s_endpgm
	.section	.rodata,"a",@progbits
	.p2align	6, 0x0
	.amdhsa_kernel _Z23fp32_router_gemm_kernelIfLi128ELi3ELi256ELi3072EEvPfPKT_PKf
		.amdhsa_group_segment_fixed_size 48
		.amdhsa_private_segment_fixed_size 0
		.amdhsa_kernarg_size 24
		.amdhsa_user_sgpr_count 15
		.amdhsa_user_sgpr_dispatch_ptr 0
		.amdhsa_user_sgpr_queue_ptr 0
		.amdhsa_user_sgpr_kernarg_segment_ptr 1
		.amdhsa_user_sgpr_dispatch_id 0
		.amdhsa_user_sgpr_private_segment_size 0
		.amdhsa_wavefront_size32 1
		.amdhsa_uses_dynamic_stack 0
		.amdhsa_enable_private_segment 0
		.amdhsa_system_sgpr_workgroup_id_x 1
		.amdhsa_system_sgpr_workgroup_id_y 0
		.amdhsa_system_sgpr_workgroup_id_z 0
		.amdhsa_system_sgpr_workgroup_info 0
		.amdhsa_system_vgpr_workitem_id 0
		.amdhsa_next_free_vgpr 92
		.amdhsa_next_free_sgpr 16
		.amdhsa_reserve_vcc 1
		.amdhsa_float_round_mode_32 0
		.amdhsa_float_round_mode_16_64 0
		.amdhsa_float_denorm_mode_32 3
		.amdhsa_float_denorm_mode_16_64 3
		.amdhsa_dx10_clamp 1
		.amdhsa_ieee_mode 1
		.amdhsa_fp16_overflow 0
		.amdhsa_workgroup_processor_mode 1
		.amdhsa_memory_ordered 1
		.amdhsa_forward_progress 0
		.amdhsa_shared_vgpr_count 0
		.amdhsa_exception_fp_ieee_invalid_op 0
		.amdhsa_exception_fp_denorm_src 0
		.amdhsa_exception_fp_ieee_div_zero 0
		.amdhsa_exception_fp_ieee_overflow 0
		.amdhsa_exception_fp_ieee_underflow 0
		.amdhsa_exception_fp_ieee_inexact 0
		.amdhsa_exception_int_div_zero 0
	.end_amdhsa_kernel
	.section	.text._Z23fp32_router_gemm_kernelIfLi128ELi3ELi256ELi3072EEvPfPKT_PKf,"axG",@progbits,_Z23fp32_router_gemm_kernelIfLi128ELi3ELi256ELi3072EEvPfPKT_PKf,comdat
.Lfunc_end2:
	.size	_Z23fp32_router_gemm_kernelIfLi128ELi3ELi256ELi3072EEvPfPKT_PKf, .Lfunc_end2-_Z23fp32_router_gemm_kernelIfLi128ELi3ELi256ELi3072EEvPfPKT_PKf
                                        ; -- End function
	.section	.AMDGPU.csdata,"",@progbits
; Kernel info:
; codeLenInByte = 1612
; NumSgprs: 18
; NumVgprs: 92
; ScratchSize: 0
; MemoryBound: 0
; FloatMode: 240
; IeeeMode: 1
; LDSByteSize: 48 bytes/workgroup (compile time only)
; SGPRBlocks: 2
; VGPRBlocks: 11
; NumSGPRsForWavesPerEU: 18
; NumVGPRsForWavesPerEU: 92
; Occupancy: 16
; WaveLimiterHint : 1
; COMPUTE_PGM_RSRC2:SCRATCH_EN: 0
; COMPUTE_PGM_RSRC2:USER_SGPR: 15
; COMPUTE_PGM_RSRC2:TRAP_HANDLER: 0
; COMPUTE_PGM_RSRC2:TGID_X_EN: 1
; COMPUTE_PGM_RSRC2:TGID_Y_EN: 0
; COMPUTE_PGM_RSRC2:TGID_Z_EN: 0
; COMPUTE_PGM_RSRC2:TIDIG_COMP_CNT: 0
	.section	.text._Z23fp32_router_gemm_kernelIfLi128ELi4ELi256ELi3072EEvPfPKT_PKf,"axG",@progbits,_Z23fp32_router_gemm_kernelIfLi128ELi4ELi256ELi3072EEvPfPKT_PKf,comdat
	.protected	_Z23fp32_router_gemm_kernelIfLi128ELi4ELi256ELi3072EEvPfPKT_PKf ; -- Begin function _Z23fp32_router_gemm_kernelIfLi128ELi4ELi256ELi3072EEvPfPKT_PKf
	.globl	_Z23fp32_router_gemm_kernelIfLi128ELi4ELi256ELi3072EEvPfPKT_PKf
	.p2align	8
	.type	_Z23fp32_router_gemm_kernelIfLi128ELi4ELi256ELi3072EEvPfPKT_PKf,@function
_Z23fp32_router_gemm_kernelIfLi128ELi4ELi256ELi3072EEvPfPKT_PKf: ; @_Z23fp32_router_gemm_kernelIfLi128ELi4ELi256ELi3072EEvPfPKT_PKf
; %bb.0:
	s_clause 0x1
	s_load_b64 s[6:7], s[0:1], 0x10
	s_load_b128 s[0:3], s[0:1], 0x0
	s_mul_i32 s8, s15, 0xc00
	v_lshlrev_b32_e32 v9, 4, v0
	s_ashr_i32 s9, s8, 31
	s_mov_b32 s4, s15
	s_lshl_b64 s[8:9], s[8:9], 2
	s_waitcnt lgkmcnt(0)
	s_add_u32 s6, s6, s8
	s_addc_u32 s7, s7, s9
	s_clause 0x3
	global_load_b128 v[1:4], v9, s[6:7]
	global_load_b128 v[25:28], v9, s[2:3]
	global_load_b128 v[29:32], v9, s[2:3] offset:2048
	global_load_b128 v[5:8], v9, s[6:7] offset:2048
	v_add_co_u32 v43, s2, s2, v9
	s_delay_alu instid0(VALU_DEP_1) | instskip(SKIP_1) | instid1(VALU_DEP_1)
	v_add_co_ci_u32_e64 v44, null, s3, 0, s2
	v_add_co_u32 v23, s2, s6, v9
	v_add_co_ci_u32_e64 v24, null, s7, 0, s2
	s_delay_alu instid0(VALU_DEP_4) | instskip(NEXT) | instid1(VALU_DEP_4)
	v_add_co_u32 v17, vcc_lo, v43, 0x2000
	v_add_co_ci_u32_e32 v18, vcc_lo, 0, v44, vcc_lo
	s_delay_alu instid0(VALU_DEP_4) | instskip(NEXT) | instid1(VALU_DEP_4)
	v_add_co_u32 v19, vcc_lo, v23, 0x2000
	v_add_co_ci_u32_e32 v20, vcc_lo, 0, v24, vcc_lo
	global_load_b128 v[97:100], v[17:18], off offset:-4096
	global_load_b128 v[9:12], v[19:20], off offset:-4096
	v_add_co_u32 v13, vcc_lo, 0x1000, v43
	v_add_co_ci_u32_e32 v14, vcc_lo, 0, v44, vcc_lo
	v_add_co_u32 v15, vcc_lo, 0x1000, v23
	v_add_co_ci_u32_e32 v16, vcc_lo, 0, v24, vcc_lo
	global_load_b128 v[101:104], v[13:14], off offset:2048
	global_load_b128 v[13:16], v[15:16], off offset:2048
	global_load_b128 v[105:108], v[17:18], off
	global_load_b128 v[17:20], v[19:20], off
	v_add_co_u32 v21, vcc_lo, 0x2000, v43
	v_add_co_ci_u32_e32 v22, vcc_lo, 0, v44, vcc_lo
	v_add_co_u32 v23, vcc_lo, 0x2000, v23
	v_add_co_ci_u32_e32 v24, vcc_lo, 0, v24, vcc_lo
	global_load_b128 v[109:112], v[21:22], off offset:2048
	global_load_b128 v[21:24], v[23:24], off offset:2048
	v_add_co_u32 v33, vcc_lo, 0x4000, v43
	v_add_co_ci_u32_e32 v34, vcc_lo, 0, v44, vcc_lo
	v_add_co_u32 v37, vcc_lo, 0x5000, v43
	v_add_co_ci_u32_e32 v38, vcc_lo, 0, v44, vcc_lo
	;; [unrolled: 2-line block ×12, first 2 shown]
	s_clause 0x3
	global_load_b128 v[81:84], v[33:34], off offset:2048
	global_load_b128 v[73:76], v[37:38], off
	global_load_b128 v[85:88], v[35:36], off offset:2048
	global_load_b128 v[61:64], v[39:40], off offset:2048
	s_waitcnt vmcnt(14)
	v_fma_f32 v115, v25, v1, 0
	s_delay_alu instid0(VALU_DEP_1) | instskip(NEXT) | instid1(VALU_DEP_1)
	v_fmac_f32_e32 v115, v26, v2
	v_fmac_f32_e32 v115, v27, v3
	s_delay_alu instid0(VALU_DEP_1)
	v_fmac_f32_e32 v115, v28, v4
	s_clause 0xb
	global_load_b128 v[41:44], v[41:42], off offset:2048
	global_load_b128 v[33:36], v[45:46], off
	global_load_b128 v[57:60], v[47:48], off offset:2048
	global_load_b128 v[25:28], v[49:50], off offset:2048
	global_load_b128 v[49:52], v[55:56], off
	global_load_b128 v[77:80], v[37:38], off offset:2048
	global_load_b128 v[45:48], v[45:46], off offset:-4096
	global_load_b128 v[65:68], v[53:54], off
	global_load_b128 v[69:72], v[53:54], off offset:-4096
	global_load_b128 v[89:92], v[93:94], off
	global_load_b128 v[53:56], v[55:56], off offset:2048
	global_load_b128 v[37:40], v[113:114], off
	s_waitcnt vmcnt(24)
	v_fmac_f32_e32 v115, v29, v5
	s_delay_alu instid0(VALU_DEP_1) | instskip(NEXT) | instid1(VALU_DEP_1)
	v_fmac_f32_e32 v115, v30, v6
	v_fmac_f32_e32 v115, v31, v7
	s_delay_alu instid0(VALU_DEP_1)
	v_fmac_f32_e32 v115, v32, v8
	s_clause 0x1
	global_load_b128 v[93:96], v[93:94], off offset:-4096
	global_load_b128 v[29:32], v[113:114], off offset:2048
	s_waitcnt vmcnt(24)
	v_fmac_f32_e32 v115, v97, v9
	s_delay_alu instid0(VALU_DEP_1) | instskip(NEXT) | instid1(VALU_DEP_1)
	v_fmac_f32_e32 v115, v98, v10
	v_fmac_f32_e32 v115, v99, v11
	s_delay_alu instid0(VALU_DEP_1) | instskip(SKIP_1) | instid1(VALU_DEP_1)
	v_fmac_f32_e32 v115, v100, v12
	s_waitcnt vmcnt(22)
	v_fmac_f32_e32 v115, v101, v13
	v_mbcnt_lo_u32_b32 v101, -1, 0
	s_delay_alu instid0(VALU_DEP_2) | instskip(NEXT) | instid1(VALU_DEP_2)
	v_fmac_f32_e32 v115, v102, v14
	v_xor_b32_e32 v97, 16, v101
	v_xor_b32_e32 v98, 8, v101
	s_delay_alu instid0(VALU_DEP_3) | instskip(NEXT) | instid1(VALU_DEP_3)
	v_fmac_f32_e32 v115, v103, v15
	v_cmp_gt_i32_e32 vcc_lo, 32, v97
	s_delay_alu instid0(VALU_DEP_2) | instskip(SKIP_1) | instid1(VALU_DEP_1)
	v_fmac_f32_e32 v115, v104, v16
	s_waitcnt vmcnt(20)
	v_fmac_f32_e32 v115, v105, v17
	v_lshrrev_b32_e32 v105, 5, v0
	s_delay_alu instid0(VALU_DEP_2) | instskip(NEXT) | instid1(VALU_DEP_1)
	v_fmac_f32_e32 v115, v106, v18
	v_fmac_f32_e32 v115, v107, v19
	s_delay_alu instid0(VALU_DEP_1) | instskip(SKIP_1) | instid1(VALU_DEP_1)
	v_fmac_f32_e32 v115, v108, v20
	s_waitcnt vmcnt(18)
	v_fmac_f32_e32 v115, v109, v21
	s_delay_alu instid0(VALU_DEP_1) | instskip(NEXT) | instid1(VALU_DEP_1)
	v_fmac_f32_e32 v115, v110, v22
	v_fmac_f32_e32 v115, v111, v23
	s_delay_alu instid0(VALU_DEP_1) | instskip(SKIP_2) | instid1(VALU_DEP_2)
	v_fmac_f32_e32 v115, v112, v24
	v_cndmask_b32_e32 v97, v101, v97, vcc_lo
	v_cmp_gt_i32_e32 vcc_lo, 32, v98
	v_dual_cndmask_b32 v98, v101, v98 :: v_dual_lshlrev_b32 v97, 2, v97
	ds_bpermute_b32 v99, v97, v115
	v_lshlrev_b32_e32 v98, 2, v98
	s_waitcnt lgkmcnt(0)
	v_add_f32_e32 v100, v115, v99
	v_xor_b32_e32 v99, 4, v101
	ds_bpermute_b32 v102, v98, v100
	v_cmp_gt_i32_e32 vcc_lo, 32, v99
	v_cndmask_b32_e32 v99, v101, v99, vcc_lo
	s_waitcnt lgkmcnt(0)
	s_delay_alu instid0(VALU_DEP_1)
	v_dual_add_f32 v102, v100, v102 :: v_dual_lshlrev_b32 v99, 2, v99
	v_xor_b32_e32 v100, 2, v101
	ds_bpermute_b32 v103, v99, v102
	v_cmp_gt_i32_e32 vcc_lo, 32, v100
	v_cndmask_b32_e32 v100, v101, v100, vcc_lo
	s_waitcnt lgkmcnt(0)
	s_delay_alu instid0(VALU_DEP_1) | instskip(SKIP_4) | instid1(VALU_DEP_1)
	v_dual_add_f32 v103, v102, v103 :: v_dual_lshlrev_b32 v100, 2, v100
	v_xor_b32_e32 v102, 1, v101
	ds_bpermute_b32 v104, v100, v103
	v_cmp_gt_i32_e32 vcc_lo, 32, v102
	v_cndmask_b32_e32 v101, v101, v102, vcc_lo
	v_lshlrev_b32_e32 v102, 2, v101
	v_and_b32_e32 v101, 31, v0
	s_delay_alu instid0(VALU_DEP_1)
	v_cmp_eq_u32_e32 vcc_lo, 0, v101
	v_lshlrev_b32_e32 v101, 2, v105
	s_waitcnt lgkmcnt(0)
	v_add_f32_e32 v103, v103, v104
	ds_bpermute_b32 v104, v102, v103
	s_and_saveexec_b32 s2, vcc_lo
	s_cbranch_execz .LBB3_2
; %bb.1:
	s_waitcnt lgkmcnt(0)
	v_add_f32_e32 v103, v103, v104
	ds_store_b32 v101, v103
.LBB3_2:
	s_or_b32 exec_lo, exec_lo, s2
	s_waitcnt vmcnt(1)
	v_fma_f32 v93, v93, v1, 0
	s_delay_alu instid0(VALU_DEP_1) | instskip(NEXT) | instid1(VALU_DEP_1)
	v_fmac_f32_e32 v93, v94, v2
	v_fmac_f32_e32 v93, v95, v3
	s_delay_alu instid0(VALU_DEP_1) | instskip(NEXT) | instid1(VALU_DEP_1)
	v_fmac_f32_e32 v93, v96, v4
	v_fmac_f32_e32 v93, v85, v5
	;; [unrolled: 3-line block ×11, first 2 shown]
	s_delay_alu instid0(VALU_DEP_1)
	v_fmac_f32_e32 v93, v80, v24
	ds_bpermute_b32 v73, v97, v93
	s_waitcnt lgkmcnt(0)
	v_add_f32_e32 v73, v93, v73
	ds_bpermute_b32 v74, v98, v73
	s_waitcnt lgkmcnt(0)
	v_add_f32_e32 v73, v73, v74
	ds_bpermute_b32 v74, v99, v73
	s_waitcnt lgkmcnt(0)
	v_add_f32_e32 v73, v73, v74
	ds_bpermute_b32 v74, v100, v73
	s_waitcnt lgkmcnt(0)
	v_add_f32_e32 v73, v73, v74
	ds_bpermute_b32 v74, v102, v73
	s_and_saveexec_b32 s2, vcc_lo
	s_cbranch_execz .LBB3_4
; %bb.3:
	s_waitcnt lgkmcnt(0)
	v_add_f32_e32 v73, v73, v74
	ds_store_b32 v101, v73 offset:16
.LBB3_4:
	s_or_b32 exec_lo, exec_lo, s2
	v_fma_f32 v69, v69, v1, 0
	s_delay_alu instid0(VALU_DEP_1) | instskip(NEXT) | instid1(VALU_DEP_1)
	v_fmac_f32_e32 v69, v70, v2
	v_fmac_f32_e32 v69, v71, v3
	s_delay_alu instid0(VALU_DEP_1) | instskip(NEXT) | instid1(VALU_DEP_1)
	v_fmac_f32_e32 v69, v72, v4
	v_fmac_f32_e32 v69, v61, v5
	s_delay_alu instid0(VALU_DEP_1) | instskip(NEXT) | instid1(VALU_DEP_1)
	v_fmac_f32_e32 v69, v62, v6
	v_fmac_f32_e32 v69, v63, v7
	s_delay_alu instid0(VALU_DEP_1) | instskip(NEXT) | instid1(VALU_DEP_1)
	v_fmac_f32_e32 v69, v64, v8
	v_fmac_f32_e32 v69, v65, v9
	s_delay_alu instid0(VALU_DEP_1) | instskip(NEXT) | instid1(VALU_DEP_1)
	v_fmac_f32_e32 v69, v66, v10
	v_fmac_f32_e32 v69, v67, v11
	s_delay_alu instid0(VALU_DEP_1) | instskip(NEXT) | instid1(VALU_DEP_1)
	v_fmac_f32_e32 v69, v68, v12
	v_fmac_f32_e32 v69, v57, v13
	s_delay_alu instid0(VALU_DEP_1) | instskip(NEXT) | instid1(VALU_DEP_1)
	v_fmac_f32_e32 v69, v58, v14
	v_fmac_f32_e32 v69, v59, v15
	s_delay_alu instid0(VALU_DEP_1) | instskip(NEXT) | instid1(VALU_DEP_1)
	v_fmac_f32_e32 v69, v60, v16
	v_fmac_f32_e32 v69, v49, v17
	s_delay_alu instid0(VALU_DEP_1) | instskip(NEXT) | instid1(VALU_DEP_1)
	v_fmac_f32_e32 v69, v50, v18
	v_fmac_f32_e32 v69, v51, v19
	s_delay_alu instid0(VALU_DEP_1) | instskip(NEXT) | instid1(VALU_DEP_1)
	v_fmac_f32_e32 v69, v52, v20
	v_fmac_f32_e32 v69, v53, v21
	s_delay_alu instid0(VALU_DEP_1) | instskip(NEXT) | instid1(VALU_DEP_1)
	v_fmac_f32_e32 v69, v54, v22
	v_fmac_f32_e32 v69, v55, v23
	s_delay_alu instid0(VALU_DEP_1)
	v_fmac_f32_e32 v69, v56, v24
	ds_bpermute_b32 v49, v97, v69
	s_waitcnt lgkmcnt(0)
	v_add_f32_e32 v49, v69, v49
	ds_bpermute_b32 v50, v98, v49
	s_waitcnt lgkmcnt(0)
	v_add_f32_e32 v49, v49, v50
	;; [unrolled: 3-line block ×4, first 2 shown]
	ds_bpermute_b32 v50, v102, v49
	s_and_saveexec_b32 s2, vcc_lo
	s_cbranch_execz .LBB3_6
; %bb.5:
	s_waitcnt lgkmcnt(0)
	v_add_f32_e32 v49, v49, v50
	ds_store_b32 v101, v49 offset:32
.LBB3_6:
	s_or_b32 exec_lo, exec_lo, s2
	v_fma_f32 v1, v45, v1, 0
	s_delay_alu instid0(VALU_DEP_1) | instskip(NEXT) | instid1(VALU_DEP_1)
	v_fmac_f32_e32 v1, v46, v2
	v_fmac_f32_e32 v1, v47, v3
	s_delay_alu instid0(VALU_DEP_1) | instskip(NEXT) | instid1(VALU_DEP_1)
	v_fmac_f32_e32 v1, v48, v4
	v_fmac_f32_e32 v1, v41, v5
	s_delay_alu instid0(VALU_DEP_1) | instskip(NEXT) | instid1(VALU_DEP_1)
	v_fmac_f32_e32 v1, v42, v6
	v_fmac_f32_e32 v1, v43, v7
	s_delay_alu instid0(VALU_DEP_1) | instskip(NEXT) | instid1(VALU_DEP_1)
	v_fmac_f32_e32 v1, v44, v8
	v_fmac_f32_e32 v1, v33, v9
	s_delay_alu instid0(VALU_DEP_1) | instskip(NEXT) | instid1(VALU_DEP_1)
	v_fmac_f32_e32 v1, v34, v10
	v_fmac_f32_e32 v1, v35, v11
	s_delay_alu instid0(VALU_DEP_1) | instskip(NEXT) | instid1(VALU_DEP_1)
	v_fmac_f32_e32 v1, v36, v12
	v_fmac_f32_e32 v1, v25, v13
	s_delay_alu instid0(VALU_DEP_1) | instskip(NEXT) | instid1(VALU_DEP_1)
	v_fmac_f32_e32 v1, v26, v14
	v_fmac_f32_e32 v1, v27, v15
	s_delay_alu instid0(VALU_DEP_1) | instskip(NEXT) | instid1(VALU_DEP_1)
	v_fmac_f32_e32 v1, v28, v16
	v_fmac_f32_e32 v1, v37, v17
	s_delay_alu instid0(VALU_DEP_1) | instskip(NEXT) | instid1(VALU_DEP_1)
	v_fmac_f32_e32 v1, v38, v18
	v_fmac_f32_e32 v1, v39, v19
	s_delay_alu instid0(VALU_DEP_1) | instskip(SKIP_1) | instid1(VALU_DEP_1)
	v_fmac_f32_e32 v1, v40, v20
	s_waitcnt vmcnt(0)
	v_fmac_f32_e32 v1, v29, v21
	s_delay_alu instid0(VALU_DEP_1) | instskip(NEXT) | instid1(VALU_DEP_1)
	v_fmac_f32_e32 v1, v30, v22
	v_fmac_f32_e32 v1, v31, v23
	s_delay_alu instid0(VALU_DEP_1)
	v_fmac_f32_e32 v1, v32, v24
	ds_bpermute_b32 v2, v97, v1
	s_waitcnt lgkmcnt(0)
	v_add_f32_e32 v1, v1, v2
	ds_bpermute_b32 v2, v98, v1
	s_waitcnt lgkmcnt(0)
	v_add_f32_e32 v1, v1, v2
	;; [unrolled: 3-line block ×4, first 2 shown]
	ds_bpermute_b32 v2, v102, v1
	s_and_saveexec_b32 s2, vcc_lo
	s_cbranch_execz .LBB3_8
; %bb.7:
	s_waitcnt lgkmcnt(0)
	v_add_f32_e32 v1, v1, v2
	ds_store_b32 v101, v1 offset:48
.LBB3_8:
	s_or_b32 exec_lo, exec_lo, s2
	s_waitcnt lgkmcnt(0)
	s_barrier
	buffer_gl0_inv
	s_mov_b32 s2, exec_lo
	v_cmpx_eq_u32_e32 0, v0
	s_cbranch_execz .LBB3_10
; %bb.9:
	v_mov_b32_e32 v16, 0
	s_ashr_i32 s5, s4, 31
	ds_load_b128 v[0:3], v16
	ds_load_b128 v[4:7], v16 offset:16
	ds_load_b128 v[8:11], v16 offset:32
	;; [unrolled: 1-line block ×3, first 2 shown]
	s_lshl_b64 s[2:3], s[4:5], 2
	s_delay_alu instid0(SALU_CYCLE_1)
	s_add_u32 s0, s0, s2
	s_addc_u32 s1, s1, s3
	s_waitcnt lgkmcnt(2)
	v_add_f32_e32 v4, 0, v4
	s_waitcnt lgkmcnt(0)
	v_add_f32_e32 v12, 0, v12
	v_add_f32_e32 v0, 0, v0
	s_delay_alu instid0(VALU_DEP_1) | instskip(SKIP_1) | instid1(VALU_DEP_4)
	v_add_f32_e32 v0, v0, v1
	v_add_f32_e32 v1, v4, v5
	;; [unrolled: 1-line block ×3, first 2 shown]
	s_delay_alu instid0(VALU_DEP_3) | instskip(NEXT) | instid1(VALU_DEP_3)
	v_add_f32_e32 v0, v0, v2
	v_dual_add_f32 v1, v1, v6 :: v_dual_add_f32 v8, 0, v8
	s_delay_alu instid0(VALU_DEP_2) | instskip(NEXT) | instid1(VALU_DEP_2)
	v_add_f32_e32 v0, v0, v3
	v_dual_add_f32 v1, v1, v7 :: v_dual_add_f32 v4, v8, v9
	s_delay_alu instid0(VALU_DEP_1) | instskip(SKIP_1) | instid1(VALU_DEP_2)
	v_add_f32_e32 v2, v4, v10
	v_add_f32_e32 v4, v5, v14
	;; [unrolled: 1-line block ×3, first 2 shown]
	s_delay_alu instid0(VALU_DEP_2)
	v_add_f32_e32 v3, v4, v15
	s_clause 0x3
	global_store_b32 v16, v0, s[0:1]
	global_store_b32 v16, v1, s[0:1] offset:1024
	global_store_b32 v16, v2, s[0:1] offset:2048
	;; [unrolled: 1-line block ×3, first 2 shown]
.LBB3_10:
	s_nop 0
	s_sendmsg sendmsg(MSG_DEALLOC_VGPRS)
	s_endpgm
	.section	.rodata,"a",@progbits
	.p2align	6, 0x0
	.amdhsa_kernel _Z23fp32_router_gemm_kernelIfLi128ELi4ELi256ELi3072EEvPfPKT_PKf
		.amdhsa_group_segment_fixed_size 64
		.amdhsa_private_segment_fixed_size 0
		.amdhsa_kernarg_size 24
		.amdhsa_user_sgpr_count 15
		.amdhsa_user_sgpr_dispatch_ptr 0
		.amdhsa_user_sgpr_queue_ptr 0
		.amdhsa_user_sgpr_kernarg_segment_ptr 1
		.amdhsa_user_sgpr_dispatch_id 0
		.amdhsa_user_sgpr_private_segment_size 0
		.amdhsa_wavefront_size32 1
		.amdhsa_uses_dynamic_stack 0
		.amdhsa_enable_private_segment 0
		.amdhsa_system_sgpr_workgroup_id_x 1
		.amdhsa_system_sgpr_workgroup_id_y 0
		.amdhsa_system_sgpr_workgroup_id_z 0
		.amdhsa_system_sgpr_workgroup_info 0
		.amdhsa_system_vgpr_workitem_id 0
		.amdhsa_next_free_vgpr 116
		.amdhsa_next_free_sgpr 16
		.amdhsa_reserve_vcc 1
		.amdhsa_float_round_mode_32 0
		.amdhsa_float_round_mode_16_64 0
		.amdhsa_float_denorm_mode_32 3
		.amdhsa_float_denorm_mode_16_64 3
		.amdhsa_dx10_clamp 1
		.amdhsa_ieee_mode 1
		.amdhsa_fp16_overflow 0
		.amdhsa_workgroup_processor_mode 1
		.amdhsa_memory_ordered 1
		.amdhsa_forward_progress 0
		.amdhsa_shared_vgpr_count 0
		.amdhsa_exception_fp_ieee_invalid_op 0
		.amdhsa_exception_fp_denorm_src 0
		.amdhsa_exception_fp_ieee_div_zero 0
		.amdhsa_exception_fp_ieee_overflow 0
		.amdhsa_exception_fp_ieee_underflow 0
		.amdhsa_exception_fp_ieee_inexact 0
		.amdhsa_exception_int_div_zero 0
	.end_amdhsa_kernel
	.section	.text._Z23fp32_router_gemm_kernelIfLi128ELi4ELi256ELi3072EEvPfPKT_PKf,"axG",@progbits,_Z23fp32_router_gemm_kernelIfLi128ELi4ELi256ELi3072EEvPfPKT_PKf,comdat
.Lfunc_end3:
	.size	_Z23fp32_router_gemm_kernelIfLi128ELi4ELi256ELi3072EEvPfPKT_PKf, .Lfunc_end3-_Z23fp32_router_gemm_kernelIfLi128ELi4ELi256ELi3072EEvPfPKT_PKf
                                        ; -- End function
	.section	.AMDGPU.csdata,"",@progbits
; Kernel info:
; codeLenInByte = 2012
; NumSgprs: 18
; NumVgprs: 116
; ScratchSize: 0
; MemoryBound: 0
; FloatMode: 240
; IeeeMode: 1
; LDSByteSize: 64 bytes/workgroup (compile time only)
; SGPRBlocks: 2
; VGPRBlocks: 14
; NumSGPRsForWavesPerEU: 18
; NumVGPRsForWavesPerEU: 116
; Occupancy: 12
; WaveLimiterHint : 1
; COMPUTE_PGM_RSRC2:SCRATCH_EN: 0
; COMPUTE_PGM_RSRC2:USER_SGPR: 15
; COMPUTE_PGM_RSRC2:TRAP_HANDLER: 0
; COMPUTE_PGM_RSRC2:TGID_X_EN: 1
; COMPUTE_PGM_RSRC2:TGID_Y_EN: 0
; COMPUTE_PGM_RSRC2:TGID_Z_EN: 0
; COMPUTE_PGM_RSRC2:TIDIG_COMP_CNT: 0
	.section	.text._Z23fp32_router_gemm_kernelIfLi128ELi5ELi256ELi3072EEvPfPKT_PKf,"axG",@progbits,_Z23fp32_router_gemm_kernelIfLi128ELi5ELi256ELi3072EEvPfPKT_PKf,comdat
	.protected	_Z23fp32_router_gemm_kernelIfLi128ELi5ELi256ELi3072EEvPfPKT_PKf ; -- Begin function _Z23fp32_router_gemm_kernelIfLi128ELi5ELi256ELi3072EEvPfPKT_PKf
	.globl	_Z23fp32_router_gemm_kernelIfLi128ELi5ELi256ELi3072EEvPfPKT_PKf
	.p2align	8
	.type	_Z23fp32_router_gemm_kernelIfLi128ELi5ELi256ELi3072EEvPfPKT_PKf,@function
_Z23fp32_router_gemm_kernelIfLi128ELi5ELi256ELi3072EEvPfPKT_PKf: ; @_Z23fp32_router_gemm_kernelIfLi128ELi5ELi256ELi3072EEvPfPKT_PKf
; %bb.0:
	s_clause 0x1
	s_load_b64 s[6:7], s[0:1], 0x10
	s_load_b128 s[0:3], s[0:1], 0x0
	s_mul_i32 s8, s15, 0xc00
	v_lshlrev_b32_e32 v9, 4, v0
	s_ashr_i32 s9, s8, 31
	s_mov_b32 s4, s15
	s_lshl_b64 s[8:9], s[8:9], 2
	s_waitcnt lgkmcnt(0)
	s_add_u32 s6, s6, s8
	s_addc_u32 s7, s7, s9
	s_clause 0x3
	global_load_b128 v[1:4], v9, s[6:7]
	global_load_b128 v[25:28], v9, s[2:3]
	global_load_b128 v[29:32], v9, s[2:3] offset:2048
	global_load_b128 v[5:8], v9, s[6:7] offset:2048
	v_add_co_u32 v51, s2, s2, v9
	s_delay_alu instid0(VALU_DEP_1) | instskip(SKIP_1) | instid1(VALU_DEP_1)
	v_add_co_ci_u32_e64 v52, null, s3, 0, s2
	v_add_co_u32 v23, s2, s6, v9
	v_add_co_ci_u32_e64 v24, null, s7, 0, s2
	s_delay_alu instid0(VALU_DEP_4) | instskip(NEXT) | instid1(VALU_DEP_4)
	v_add_co_u32 v17, vcc_lo, v51, 0x2000
	v_add_co_ci_u32_e32 v18, vcc_lo, 0, v52, vcc_lo
	s_delay_alu instid0(VALU_DEP_4) | instskip(NEXT) | instid1(VALU_DEP_4)
	v_add_co_u32 v19, vcc_lo, v23, 0x2000
	v_add_co_ci_u32_e32 v20, vcc_lo, 0, v24, vcc_lo
	global_load_b128 v[121:124], v[17:18], off offset:-4096
	global_load_b128 v[9:12], v[19:20], off offset:-4096
	v_add_co_u32 v13, vcc_lo, 0x1000, v51
	v_add_co_ci_u32_e32 v14, vcc_lo, 0, v52, vcc_lo
	v_add_co_u32 v15, vcc_lo, 0x1000, v23
	v_add_co_ci_u32_e32 v16, vcc_lo, 0, v24, vcc_lo
	global_load_b128 v[125:128], v[13:14], off offset:2048
	global_load_b128 v[13:16], v[15:16], off offset:2048
	global_load_b128 v[129:132], v[17:18], off
	global_load_b128 v[17:20], v[19:20], off
	v_add_co_u32 v21, vcc_lo, 0x2000, v51
	v_add_co_ci_u32_e32 v22, vcc_lo, 0, v52, vcc_lo
	v_add_co_u32 v23, vcc_lo, 0x2000, v23
	v_add_co_ci_u32_e32 v24, vcc_lo, 0, v24, vcc_lo
	global_load_b128 v[133:136], v[21:22], off offset:2048
	global_load_b128 v[21:24], v[23:24], off offset:2048
	v_add_co_u32 v33, vcc_lo, 0x4000, v51
	v_add_co_ci_u32_e32 v34, vcc_lo, 0, v52, vcc_lo
	v_add_co_u32 v37, vcc_lo, 0x5000, v51
	v_add_co_ci_u32_e32 v38, vcc_lo, 0, v52, vcc_lo
	;; [unrolled: 2-line block ×16, first 2 shown]
	s_clause 0x3
	global_load_b128 v[105:108], v[33:34], off offset:2048
	global_load_b128 v[97:100], v[37:38], off
	global_load_b128 v[109:112], v[35:36], off offset:2048
	global_load_b128 v[85:88], v[39:40], off offset:2048
	s_waitcnt vmcnt(14)
	v_fma_f32 v139, v25, v1, 0
	s_delay_alu instid0(VALU_DEP_1) | instskip(NEXT) | instid1(VALU_DEP_1)
	v_fmac_f32_e32 v139, v26, v2
	v_fmac_f32_e32 v139, v27, v3
	s_delay_alu instid0(VALU_DEP_1)
	v_fmac_f32_e32 v139, v28, v4
	s_clause 0x11
	global_load_b128 v[61:64], v[41:42], off offset:2048
	global_load_b128 v[33:36], v[43:44], off offset:2048
	;; [unrolled: 1-line block ×5, first 2 shown]
	global_load_b128 v[77:80], v[55:56], off
	global_load_b128 v[101:104], v[37:38], off offset:2048
	global_load_b128 v[73:76], v[55:56], off offset:2048
	global_load_b128 v[53:56], v[119:120], off
	global_load_b128 v[41:44], v[45:46], off
	global_load_b128 v[45:48], v[45:46], off offset:-4096
	global_load_b128 v[65:68], v[59:60], off
	global_load_b128 v[69:72], v[59:60], off offset:-4096
	;; [unrolled: 2-line block ×3, first 2 shown]
	global_load_b128 v[113:116], v[117:118], off
	global_load_b128 v[57:60], v[119:120], off offset:2048
	global_load_b128 v[37:40], v[137:138], off
	s_waitcnt vmcnt(30)
	v_fmac_f32_e32 v139, v29, v5
	s_delay_alu instid0(VALU_DEP_1) | instskip(NEXT) | instid1(VALU_DEP_1)
	v_fmac_f32_e32 v139, v30, v6
	v_fmac_f32_e32 v139, v31, v7
	s_delay_alu instid0(VALU_DEP_1)
	v_fmac_f32_e32 v139, v32, v8
	s_clause 0x1
	global_load_b128 v[117:120], v[117:118], off offset:-4096
	global_load_b128 v[29:32], v[137:138], off offset:2048
	s_waitcnt vmcnt(30)
	v_fmac_f32_e32 v139, v121, v9
	s_delay_alu instid0(VALU_DEP_1) | instskip(NEXT) | instid1(VALU_DEP_1)
	v_fmac_f32_e32 v139, v122, v10
	v_fmac_f32_e32 v139, v123, v11
	s_delay_alu instid0(VALU_DEP_1) | instskip(SKIP_1) | instid1(VALU_DEP_1)
	v_fmac_f32_e32 v139, v124, v12
	s_waitcnt vmcnt(28)
	v_fmac_f32_e32 v139, v125, v13
	v_mbcnt_lo_u32_b32 v125, -1, 0
	s_delay_alu instid0(VALU_DEP_2) | instskip(NEXT) | instid1(VALU_DEP_2)
	v_fmac_f32_e32 v139, v126, v14
	v_xor_b32_e32 v121, 16, v125
	v_xor_b32_e32 v122, 8, v125
	s_delay_alu instid0(VALU_DEP_3) | instskip(NEXT) | instid1(VALU_DEP_3)
	v_fmac_f32_e32 v139, v127, v15
	v_cmp_gt_i32_e32 vcc_lo, 32, v121
	s_delay_alu instid0(VALU_DEP_2) | instskip(SKIP_1) | instid1(VALU_DEP_1)
	v_fmac_f32_e32 v139, v128, v16
	s_waitcnt vmcnt(26)
	v_fmac_f32_e32 v139, v129, v17
	v_lshrrev_b32_e32 v129, 5, v0
	s_delay_alu instid0(VALU_DEP_2) | instskip(NEXT) | instid1(VALU_DEP_1)
	v_fmac_f32_e32 v139, v130, v18
	v_fmac_f32_e32 v139, v131, v19
	s_delay_alu instid0(VALU_DEP_1) | instskip(SKIP_1) | instid1(VALU_DEP_1)
	v_fmac_f32_e32 v139, v132, v20
	s_waitcnt vmcnt(24)
	v_fmac_f32_e32 v139, v133, v21
	s_delay_alu instid0(VALU_DEP_1) | instskip(NEXT) | instid1(VALU_DEP_1)
	v_fmac_f32_e32 v139, v134, v22
	v_fmac_f32_e32 v139, v135, v23
	s_delay_alu instid0(VALU_DEP_1) | instskip(SKIP_2) | instid1(VALU_DEP_2)
	v_fmac_f32_e32 v139, v136, v24
	v_cndmask_b32_e32 v121, v125, v121, vcc_lo
	v_cmp_gt_i32_e32 vcc_lo, 32, v122
	v_dual_cndmask_b32 v122, v125, v122 :: v_dual_lshlrev_b32 v121, 2, v121
	ds_bpermute_b32 v123, v121, v139
	v_lshlrev_b32_e32 v122, 2, v122
	s_waitcnt lgkmcnt(0)
	v_add_f32_e32 v124, v139, v123
	v_xor_b32_e32 v123, 4, v125
	ds_bpermute_b32 v126, v122, v124
	v_cmp_gt_i32_e32 vcc_lo, 32, v123
	v_cndmask_b32_e32 v123, v125, v123, vcc_lo
	s_waitcnt lgkmcnt(0)
	s_delay_alu instid0(VALU_DEP_1)
	v_dual_add_f32 v126, v124, v126 :: v_dual_lshlrev_b32 v123, 2, v123
	v_xor_b32_e32 v124, 2, v125
	ds_bpermute_b32 v127, v123, v126
	v_cmp_gt_i32_e32 vcc_lo, 32, v124
	v_cndmask_b32_e32 v124, v125, v124, vcc_lo
	s_waitcnt lgkmcnt(0)
	s_delay_alu instid0(VALU_DEP_1) | instskip(SKIP_4) | instid1(VALU_DEP_1)
	v_dual_add_f32 v127, v126, v127 :: v_dual_lshlrev_b32 v124, 2, v124
	v_xor_b32_e32 v126, 1, v125
	ds_bpermute_b32 v128, v124, v127
	v_cmp_gt_i32_e32 vcc_lo, 32, v126
	v_cndmask_b32_e32 v125, v125, v126, vcc_lo
	v_lshlrev_b32_e32 v126, 2, v125
	v_and_b32_e32 v125, 31, v0
	s_delay_alu instid0(VALU_DEP_1)
	v_cmp_eq_u32_e32 vcc_lo, 0, v125
	v_lshlrev_b32_e32 v125, 2, v129
	s_waitcnt lgkmcnt(0)
	v_add_f32_e32 v127, v127, v128
	ds_bpermute_b32 v128, v126, v127
	s_and_saveexec_b32 s2, vcc_lo
	s_cbranch_execz .LBB4_2
; %bb.1:
	s_waitcnt lgkmcnt(0)
	v_add_f32_e32 v127, v127, v128
	ds_store_b32 v125, v127
.LBB4_2:
	s_or_b32 exec_lo, exec_lo, s2
	s_waitcnt vmcnt(1)
	v_fma_f32 v117, v117, v1, 0
	s_delay_alu instid0(VALU_DEP_1) | instskip(NEXT) | instid1(VALU_DEP_1)
	v_fmac_f32_e32 v117, v118, v2
	v_fmac_f32_e32 v117, v119, v3
	s_delay_alu instid0(VALU_DEP_1) | instskip(NEXT) | instid1(VALU_DEP_1)
	v_fmac_f32_e32 v117, v120, v4
	v_fmac_f32_e32 v117, v109, v5
	s_delay_alu instid0(VALU_DEP_1) | instskip(NEXT) | instid1(VALU_DEP_1)
	v_fmac_f32_e32 v117, v110, v6
	v_fmac_f32_e32 v117, v111, v7
	s_delay_alu instid0(VALU_DEP_1) | instskip(NEXT) | instid1(VALU_DEP_1)
	v_fmac_f32_e32 v117, v112, v8
	v_fmac_f32_e32 v117, v113, v9
	s_delay_alu instid0(VALU_DEP_1) | instskip(NEXT) | instid1(VALU_DEP_1)
	v_fmac_f32_e32 v117, v114, v10
	v_fmac_f32_e32 v117, v115, v11
	s_delay_alu instid0(VALU_DEP_1) | instskip(NEXT) | instid1(VALU_DEP_1)
	v_fmac_f32_e32 v117, v116, v12
	v_fmac_f32_e32 v117, v105, v13
	s_delay_alu instid0(VALU_DEP_1) | instskip(NEXT) | instid1(VALU_DEP_1)
	v_fmac_f32_e32 v117, v106, v14
	v_fmac_f32_e32 v117, v107, v15
	s_delay_alu instid0(VALU_DEP_1) | instskip(NEXT) | instid1(VALU_DEP_1)
	v_fmac_f32_e32 v117, v108, v16
	v_fmac_f32_e32 v117, v97, v17
	s_delay_alu instid0(VALU_DEP_1) | instskip(NEXT) | instid1(VALU_DEP_1)
	v_fmac_f32_e32 v117, v98, v18
	v_fmac_f32_e32 v117, v99, v19
	s_delay_alu instid0(VALU_DEP_1) | instskip(NEXT) | instid1(VALU_DEP_1)
	v_fmac_f32_e32 v117, v100, v20
	v_fmac_f32_e32 v117, v101, v21
	s_delay_alu instid0(VALU_DEP_1) | instskip(NEXT) | instid1(VALU_DEP_1)
	v_fmac_f32_e32 v117, v102, v22
	v_fmac_f32_e32 v117, v103, v23
	s_delay_alu instid0(VALU_DEP_1)
	v_fmac_f32_e32 v117, v104, v24
	ds_bpermute_b32 v97, v121, v117
	s_waitcnt lgkmcnt(0)
	v_add_f32_e32 v97, v117, v97
	ds_bpermute_b32 v98, v122, v97
	s_waitcnt lgkmcnt(0)
	v_add_f32_e32 v97, v97, v98
	ds_bpermute_b32 v98, v123, v97
	s_waitcnt lgkmcnt(0)
	v_add_f32_e32 v97, v97, v98
	ds_bpermute_b32 v98, v124, v97
	s_waitcnt lgkmcnt(0)
	v_add_f32_e32 v97, v97, v98
	ds_bpermute_b32 v98, v126, v97
	s_and_saveexec_b32 s2, vcc_lo
	s_cbranch_execz .LBB4_4
; %bb.3:
	s_waitcnt lgkmcnt(0)
	v_add_f32_e32 v97, v97, v98
	ds_store_b32 v125, v97 offset:16
.LBB4_4:
	s_or_b32 exec_lo, exec_lo, s2
	v_fma_f32 v93, v93, v1, 0
	s_delay_alu instid0(VALU_DEP_1) | instskip(NEXT) | instid1(VALU_DEP_1)
	v_fmac_f32_e32 v93, v94, v2
	v_fmac_f32_e32 v93, v95, v3
	s_delay_alu instid0(VALU_DEP_1) | instskip(NEXT) | instid1(VALU_DEP_1)
	v_fmac_f32_e32 v93, v96, v4
	v_fmac_f32_e32 v93, v85, v5
	s_delay_alu instid0(VALU_DEP_1) | instskip(NEXT) | instid1(VALU_DEP_1)
	v_fmac_f32_e32 v93, v86, v6
	v_fmac_f32_e32 v93, v87, v7
	s_delay_alu instid0(VALU_DEP_1) | instskip(NEXT) | instid1(VALU_DEP_1)
	v_fmac_f32_e32 v93, v88, v8
	v_fmac_f32_e32 v93, v89, v9
	s_delay_alu instid0(VALU_DEP_1) | instskip(NEXT) | instid1(VALU_DEP_1)
	v_fmac_f32_e32 v93, v90, v10
	v_fmac_f32_e32 v93, v91, v11
	s_delay_alu instid0(VALU_DEP_1) | instskip(NEXT) | instid1(VALU_DEP_1)
	v_fmac_f32_e32 v93, v92, v12
	v_fmac_f32_e32 v93, v81, v13
	s_delay_alu instid0(VALU_DEP_1) | instskip(NEXT) | instid1(VALU_DEP_1)
	v_fmac_f32_e32 v93, v82, v14
	v_fmac_f32_e32 v93, v83, v15
	s_delay_alu instid0(VALU_DEP_1) | instskip(NEXT) | instid1(VALU_DEP_1)
	v_fmac_f32_e32 v93, v84, v16
	v_fmac_f32_e32 v93, v77, v17
	s_delay_alu instid0(VALU_DEP_1) | instskip(NEXT) | instid1(VALU_DEP_1)
	v_fmac_f32_e32 v93, v78, v18
	v_fmac_f32_e32 v93, v79, v19
	s_delay_alu instid0(VALU_DEP_1) | instskip(NEXT) | instid1(VALU_DEP_1)
	v_fmac_f32_e32 v93, v80, v20
	v_fmac_f32_e32 v93, v73, v21
	s_delay_alu instid0(VALU_DEP_1) | instskip(NEXT) | instid1(VALU_DEP_1)
	v_fmac_f32_e32 v93, v74, v22
	v_fmac_f32_e32 v93, v75, v23
	s_delay_alu instid0(VALU_DEP_1)
	v_fmac_f32_e32 v93, v76, v24
	ds_bpermute_b32 v73, v121, v93
	s_waitcnt lgkmcnt(0)
	v_add_f32_e32 v73, v93, v73
	ds_bpermute_b32 v74, v122, v73
	s_waitcnt lgkmcnt(0)
	v_add_f32_e32 v73, v73, v74
	ds_bpermute_b32 v74, v123, v73
	s_waitcnt lgkmcnt(0)
	v_add_f32_e32 v73, v73, v74
	ds_bpermute_b32 v74, v124, v73
	s_waitcnt lgkmcnt(0)
	v_add_f32_e32 v73, v73, v74
	ds_bpermute_b32 v74, v126, v73
	s_and_saveexec_b32 s2, vcc_lo
	s_cbranch_execz .LBB4_6
; %bb.5:
	s_waitcnt lgkmcnt(0)
	v_add_f32_e32 v73, v73, v74
	ds_store_b32 v125, v73 offset:32
.LBB4_6:
	s_or_b32 exec_lo, exec_lo, s2
	;; [unrolled: 57-line block ×3, first 2 shown]
	v_fma_f32 v1, v45, v1, 0
	s_delay_alu instid0(VALU_DEP_1) | instskip(NEXT) | instid1(VALU_DEP_1)
	v_fmac_f32_e32 v1, v46, v2
	v_fmac_f32_e32 v1, v47, v3
	s_delay_alu instid0(VALU_DEP_1) | instskip(NEXT) | instid1(VALU_DEP_1)
	v_fmac_f32_e32 v1, v48, v4
	v_fmac_f32_e32 v1, v33, v5
	;; [unrolled: 3-line block ×9, first 2 shown]
	s_delay_alu instid0(VALU_DEP_1) | instskip(SKIP_1) | instid1(VALU_DEP_1)
	v_fmac_f32_e32 v1, v40, v20
	s_waitcnt vmcnt(0)
	v_fmac_f32_e32 v1, v29, v21
	s_delay_alu instid0(VALU_DEP_1) | instskip(NEXT) | instid1(VALU_DEP_1)
	v_fmac_f32_e32 v1, v30, v22
	v_fmac_f32_e32 v1, v31, v23
	s_delay_alu instid0(VALU_DEP_1)
	v_fmac_f32_e32 v1, v32, v24
	ds_bpermute_b32 v2, v121, v1
	s_waitcnt lgkmcnt(0)
	v_add_f32_e32 v1, v1, v2
	ds_bpermute_b32 v2, v122, v1
	s_waitcnt lgkmcnt(0)
	v_add_f32_e32 v1, v1, v2
	;; [unrolled: 3-line block ×4, first 2 shown]
	ds_bpermute_b32 v2, v126, v1
	s_and_saveexec_b32 s2, vcc_lo
	s_cbranch_execz .LBB4_10
; %bb.9:
	s_waitcnt lgkmcnt(0)
	v_add_f32_e32 v1, v1, v2
	ds_store_b32 v125, v1 offset:64
.LBB4_10:
	s_or_b32 exec_lo, exec_lo, s2
	s_waitcnt lgkmcnt(0)
	s_barrier
	buffer_gl0_inv
	s_mov_b32 s2, exec_lo
	v_cmpx_eq_u32_e32 0, v0
	s_cbranch_execz .LBB4_12
; %bb.11:
	v_dual_mov_b32 v20, 0 :: v_dual_mov_b32 v21, 0x1000
	s_ashr_i32 s5, s4, 31
	ds_load_b128 v[0:3], v20
	ds_load_b128 v[4:7], v20 offset:16
	ds_load_b128 v[8:11], v20 offset:32
	;; [unrolled: 1-line block ×4, first 2 shown]
	s_lshl_b64 s[2:3], s[4:5], 2
	s_delay_alu instid0(SALU_CYCLE_1)
	s_add_u32 s0, s0, s2
	s_addc_u32 s1, s1, s3
	s_waitcnt lgkmcnt(1)
	v_add_f32_e32 v12, 0, v12
	v_add_f32_e32 v4, 0, v4
	;; [unrolled: 1-line block ×3, first 2 shown]
	s_delay_alu instid0(VALU_DEP_1) | instskip(NEXT) | instid1(VALU_DEP_3)
	v_add_f32_e32 v0, v0, v1
	v_dual_add_f32 v1, v4, v5 :: v_dual_add_f32 v8, 0, v8
	v_add_f32_e32 v5, v12, v13
	s_delay_alu instid0(VALU_DEP_3) | instskip(SKIP_1) | instid1(VALU_DEP_3)
	v_add_f32_e32 v0, v0, v2
	s_waitcnt lgkmcnt(0)
	v_dual_add_f32 v1, v1, v6 :: v_dual_add_f32 v16, 0, v16
	v_add_f32_e32 v4, v8, v9
	s_delay_alu instid0(VALU_DEP_3) | instskip(NEXT) | instid1(VALU_DEP_3)
	v_add_f32_e32 v0, v0, v3
	v_dual_add_f32 v1, v1, v7 :: v_dual_add_f32 v8, v16, v17
	s_delay_alu instid0(VALU_DEP_3) | instskip(SKIP_1) | instid1(VALU_DEP_2)
	v_add_f32_e32 v2, v4, v10
	v_add_f32_e32 v4, v5, v14
	v_dual_add_f32 v5, v8, v18 :: v_dual_add_f32 v2, v2, v11
	s_delay_alu instid0(VALU_DEP_2) | instskip(NEXT) | instid1(VALU_DEP_2)
	v_add_f32_e32 v3, v4, v15
	v_add_f32_e32 v4, v5, v19
	s_clause 0x4
	global_store_b32 v20, v0, s[0:1]
	global_store_b32 v20, v1, s[0:1] offset:1024
	global_store_b32 v20, v2, s[0:1] offset:2048
	;; [unrolled: 1-line block ×3, first 2 shown]
	global_store_b32 v21, v4, s[0:1]
.LBB4_12:
	s_nop 0
	s_sendmsg sendmsg(MSG_DEALLOC_VGPRS)
	s_endpgm
	.section	.rodata,"a",@progbits
	.p2align	6, 0x0
	.amdhsa_kernel _Z23fp32_router_gemm_kernelIfLi128ELi5ELi256ELi3072EEvPfPKT_PKf
		.amdhsa_group_segment_fixed_size 80
		.amdhsa_private_segment_fixed_size 0
		.amdhsa_kernarg_size 24
		.amdhsa_user_sgpr_count 15
		.amdhsa_user_sgpr_dispatch_ptr 0
		.amdhsa_user_sgpr_queue_ptr 0
		.amdhsa_user_sgpr_kernarg_segment_ptr 1
		.amdhsa_user_sgpr_dispatch_id 0
		.amdhsa_user_sgpr_private_segment_size 0
		.amdhsa_wavefront_size32 1
		.amdhsa_uses_dynamic_stack 0
		.amdhsa_enable_private_segment 0
		.amdhsa_system_sgpr_workgroup_id_x 1
		.amdhsa_system_sgpr_workgroup_id_y 0
		.amdhsa_system_sgpr_workgroup_id_z 0
		.amdhsa_system_sgpr_workgroup_info 0
		.amdhsa_system_vgpr_workitem_id 0
		.amdhsa_next_free_vgpr 140
		.amdhsa_next_free_sgpr 16
		.amdhsa_reserve_vcc 1
		.amdhsa_float_round_mode_32 0
		.amdhsa_float_round_mode_16_64 0
		.amdhsa_float_denorm_mode_32 3
		.amdhsa_float_denorm_mode_16_64 3
		.amdhsa_dx10_clamp 1
		.amdhsa_ieee_mode 1
		.amdhsa_fp16_overflow 0
		.amdhsa_workgroup_processor_mode 1
		.amdhsa_memory_ordered 1
		.amdhsa_forward_progress 0
		.amdhsa_shared_vgpr_count 0
		.amdhsa_exception_fp_ieee_invalid_op 0
		.amdhsa_exception_fp_denorm_src 0
		.amdhsa_exception_fp_ieee_div_zero 0
		.amdhsa_exception_fp_ieee_overflow 0
		.amdhsa_exception_fp_ieee_underflow 0
		.amdhsa_exception_fp_ieee_inexact 0
		.amdhsa_exception_int_div_zero 0
	.end_amdhsa_kernel
	.section	.text._Z23fp32_router_gemm_kernelIfLi128ELi5ELi256ELi3072EEvPfPKT_PKf,"axG",@progbits,_Z23fp32_router_gemm_kernelIfLi128ELi5ELi256ELi3072EEvPfPKT_PKf,comdat
.Lfunc_end4:
	.size	_Z23fp32_router_gemm_kernelIfLi128ELi5ELi256ELi3072EEvPfPKT_PKf, .Lfunc_end4-_Z23fp32_router_gemm_kernelIfLi128ELi5ELi256ELi3072EEvPfPKT_PKf
                                        ; -- End function
	.section	.AMDGPU.csdata,"",@progbits
; Kernel info:
; codeLenInByte = 2412
; NumSgprs: 18
; NumVgprs: 140
; ScratchSize: 0
; MemoryBound: 0
; FloatMode: 240
; IeeeMode: 1
; LDSByteSize: 80 bytes/workgroup (compile time only)
; SGPRBlocks: 2
; VGPRBlocks: 17
; NumSGPRsForWavesPerEU: 18
; NumVGPRsForWavesPerEU: 140
; Occupancy: 10
; WaveLimiterHint : 1
; COMPUTE_PGM_RSRC2:SCRATCH_EN: 0
; COMPUTE_PGM_RSRC2:USER_SGPR: 15
; COMPUTE_PGM_RSRC2:TRAP_HANDLER: 0
; COMPUTE_PGM_RSRC2:TGID_X_EN: 1
; COMPUTE_PGM_RSRC2:TGID_Y_EN: 0
; COMPUTE_PGM_RSRC2:TGID_Z_EN: 0
; COMPUTE_PGM_RSRC2:TIDIG_COMP_CNT: 0
	.section	.text._Z23fp32_router_gemm_kernelIfLi128ELi6ELi256ELi3072EEvPfPKT_PKf,"axG",@progbits,_Z23fp32_router_gemm_kernelIfLi128ELi6ELi256ELi3072EEvPfPKT_PKf,comdat
	.protected	_Z23fp32_router_gemm_kernelIfLi128ELi6ELi256ELi3072EEvPfPKT_PKf ; -- Begin function _Z23fp32_router_gemm_kernelIfLi128ELi6ELi256ELi3072EEvPfPKT_PKf
	.globl	_Z23fp32_router_gemm_kernelIfLi128ELi6ELi256ELi3072EEvPfPKT_PKf
	.p2align	8
	.type	_Z23fp32_router_gemm_kernelIfLi128ELi6ELi256ELi3072EEvPfPKT_PKf,@function
_Z23fp32_router_gemm_kernelIfLi128ELi6ELi256ELi3072EEvPfPKT_PKf: ; @_Z23fp32_router_gemm_kernelIfLi128ELi6ELi256ELi3072EEvPfPKT_PKf
; %bb.0:
	s_clause 0x1
	s_load_b64 s[6:7], s[0:1], 0x10
	s_load_b128 s[0:3], s[0:1], 0x0
	s_mul_i32 s8, s15, 0xc00
	v_lshlrev_b32_e32 v9, 4, v0
	s_ashr_i32 s9, s8, 31
	s_mov_b32 s4, s15
	s_lshl_b64 s[8:9], s[8:9], 2
	s_waitcnt lgkmcnt(0)
	s_add_u32 s6, s6, s8
	s_addc_u32 s7, s7, s9
	s_clause 0x3
	global_load_b128 v[1:4], v9, s[6:7]
	global_load_b128 v[31:34], v9, s[2:3]
	global_load_b128 v[138:141], v9, s[2:3] offset:2048
	global_load_b128 v[5:8], v9, s[6:7] offset:2048
	v_add_co_u32 v57, s2, s2, v9
	s_delay_alu instid0(VALU_DEP_1) | instskip(SKIP_1) | instid1(VALU_DEP_1)
	v_add_co_ci_u32_e64 v58, null, s3, 0, s2
	v_add_co_u32 v23, s2, s6, v9
	v_add_co_ci_u32_e64 v24, null, s7, 0, s2
	s_delay_alu instid0(VALU_DEP_4) | instskip(NEXT) | instid1(VALU_DEP_4)
	v_add_co_u32 v17, vcc_lo, v57, 0x2000
	v_add_co_ci_u32_e32 v18, vcc_lo, 0, v58, vcc_lo
	s_delay_alu instid0(VALU_DEP_4) | instskip(NEXT) | instid1(VALU_DEP_4)
	v_add_co_u32 v19, vcc_lo, v23, 0x2000
	v_add_co_ci_u32_e32 v20, vcc_lo, 0, v24, vcc_lo
	global_load_b128 v[145:148], v[17:18], off offset:-4096
	global_load_b128 v[9:12], v[19:20], off offset:-4096
	v_add_co_u32 v13, vcc_lo, 0x1000, v57
	v_add_co_ci_u32_e32 v14, vcc_lo, 0, v58, vcc_lo
	v_add_co_u32 v15, vcc_lo, 0x1000, v23
	v_add_co_ci_u32_e32 v16, vcc_lo, 0, v24, vcc_lo
	global_load_b128 v[149:152], v[13:14], off offset:2048
	global_load_b128 v[13:16], v[15:16], off offset:2048
	global_load_b128 v[153:156], v[17:18], off
	global_load_b128 v[17:20], v[19:20], off
	v_add_co_u32 v21, vcc_lo, 0x2000, v57
	v_add_co_ci_u32_e32 v22, vcc_lo, 0, v58, vcc_lo
	v_add_co_u32 v23, vcc_lo, 0x2000, v23
	v_add_co_ci_u32_e32 v24, vcc_lo, 0, v24, vcc_lo
	global_load_b128 v[157:160], v[21:22], off offset:2048
	global_load_b128 v[21:24], v[23:24], off offset:2048
	v_add_co_u32 v25, vcc_lo, 0x4000, v57
	v_add_co_ci_u32_e32 v26, vcc_lo, 0, v58, vcc_lo
	v_add_co_u32 v35, vcc_lo, 0x5000, v57
	v_add_co_ci_u32_e32 v36, vcc_lo, 0, v58, vcc_lo
	;; [unrolled: 2-line block ×20, first 2 shown]
	global_load_b128 v[121:124], v[25:26], off offset:2048
	s_waitcnt vmcnt(11)
	v_fma_f32 v165, v31, v1, 0
	s_delay_alu instid0(VALU_DEP_1)
	v_fmac_f32_e32 v165, v32, v2
	s_clause 0x12
	global_load_b128 v[133:136], v[27:28], off offset:2048
	global_load_b128 v[109:112], v[29:30], off offset:2048
	;; [unrolled: 1-line block ×9, first 2 shown]
	global_load_b128 v[129:132], v[35:36], off
	global_load_b128 v[125:128], v[35:36], off offset:2048
	global_load_b128 v[105:108], v[55:56], off
	global_load_b128 v[97:100], v[55:56], off offset:2048
	global_load_b128 v[81:84], v[65:66], off
	global_load_b128 v[73:76], v[65:66], off offset:2048
	global_load_b128 v[53:56], v[161:162], off
	global_load_b128 v[41:44], v[45:46], off
	global_load_b128 v[45:48], v[45:46], off offset:-4096
	global_load_b128 v[65:68], v[63:64], off
	v_fmac_f32_e32 v165, v33, v3
	s_clause 0x3
	global_load_b128 v[69:72], v[63:64], off offset:-4096
	global_load_b128 v[89:92], v[61:62], off
	global_load_b128 v[93:96], v[61:62], off offset:-4096
	global_load_b128 v[113:116], v[37:38], off
	v_fmac_f32_e32 v165, v34, v4
	s_waitcnt vmcnt(32)
	s_delay_alu instid0(VALU_DEP_1) | instskip(NEXT) | instid1(VALU_DEP_1)
	v_fmac_f32_e32 v165, v138, v5
	v_fmac_f32_e32 v165, v139, v6
	s_delay_alu instid0(VALU_DEP_1)
	v_fmac_f32_e32 v165, v140, v7
	s_clause 0x3
	global_load_b128 v[117:120], v[37:38], off offset:-4096
	global_load_b128 v[137:140], v[142:143], off
	global_load_b128 v[61:64], v[161:162], off offset:2048
	global_load_b128 v[37:40], v[163:164], off
	v_fmac_f32_e32 v165, v141, v8
	s_clause 0x1
	global_load_b128 v[141:144], v[142:143], off offset:-4096
	global_load_b128 v[33:36], v[163:164], off offset:2048
	s_waitcnt vmcnt(36)
	v_fmac_f32_e32 v165, v145, v9
	s_delay_alu instid0(VALU_DEP_1) | instskip(NEXT) | instid1(VALU_DEP_1)
	v_fmac_f32_e32 v165, v146, v10
	v_fmac_f32_e32 v165, v147, v11
	s_delay_alu instid0(VALU_DEP_1) | instskip(SKIP_1) | instid1(VALU_DEP_1)
	v_fmac_f32_e32 v165, v148, v12
	s_waitcnt vmcnt(34)
	v_fmac_f32_e32 v165, v149, v13
	v_mbcnt_lo_u32_b32 v149, -1, 0
	s_delay_alu instid0(VALU_DEP_2) | instskip(NEXT) | instid1(VALU_DEP_2)
	v_fmac_f32_e32 v165, v150, v14
	v_xor_b32_e32 v145, 16, v149
	v_xor_b32_e32 v146, 8, v149
	s_delay_alu instid0(VALU_DEP_3) | instskip(NEXT) | instid1(VALU_DEP_3)
	v_fmac_f32_e32 v165, v151, v15
	v_cmp_gt_i32_e32 vcc_lo, 32, v145
	s_delay_alu instid0(VALU_DEP_2) | instskip(SKIP_3) | instid1(VALU_DEP_3)
	v_fmac_f32_e32 v165, v152, v16
	v_cndmask_b32_e32 v145, v149, v145, vcc_lo
	v_cmp_gt_i32_e32 vcc_lo, 32, v146
	s_waitcnt vmcnt(32)
	v_fmac_f32_e32 v165, v153, v17
	v_lshrrev_b32_e32 v153, 5, v0
	v_cndmask_b32_e32 v146, v149, v146, vcc_lo
	s_delay_alu instid0(VALU_DEP_3) | instskip(NEXT) | instid1(VALU_DEP_1)
	v_fmac_f32_e32 v165, v154, v18
	v_dual_fmac_f32 v165, v155, v19 :: v_dual_lshlrev_b32 v146, 2, v146
	s_delay_alu instid0(VALU_DEP_1) | instskip(SKIP_1) | instid1(VALU_DEP_1)
	v_fmac_f32_e32 v165, v156, v20
	s_waitcnt vmcnt(30)
	v_fmac_f32_e32 v165, v157, v21
	s_delay_alu instid0(VALU_DEP_1) | instskip(NEXT) | instid1(VALU_DEP_1)
	v_fmac_f32_e32 v165, v158, v22
	v_fmac_f32_e32 v165, v159, v23
	s_delay_alu instid0(VALU_DEP_1)
	v_fmac_f32_e32 v165, v160, v24
	v_lshlrev_b32_e32 v145, 2, v145
	ds_bpermute_b32 v147, v145, v165
	s_waitcnt lgkmcnt(0)
	v_add_f32_e32 v148, v165, v147
	v_xor_b32_e32 v147, 4, v149
	ds_bpermute_b32 v150, v146, v148
	v_cmp_gt_i32_e32 vcc_lo, 32, v147
	v_cndmask_b32_e32 v147, v149, v147, vcc_lo
	s_waitcnt lgkmcnt(0)
	s_delay_alu instid0(VALU_DEP_1)
	v_dual_add_f32 v150, v148, v150 :: v_dual_lshlrev_b32 v147, 2, v147
	v_xor_b32_e32 v148, 2, v149
	ds_bpermute_b32 v151, v147, v150
	v_cmp_gt_i32_e32 vcc_lo, 32, v148
	v_cndmask_b32_e32 v148, v149, v148, vcc_lo
	s_waitcnt lgkmcnt(0)
	s_delay_alu instid0(VALU_DEP_1) | instskip(SKIP_4) | instid1(VALU_DEP_1)
	v_dual_add_f32 v151, v150, v151 :: v_dual_lshlrev_b32 v148, 2, v148
	v_xor_b32_e32 v150, 1, v149
	ds_bpermute_b32 v152, v148, v151
	v_cmp_gt_i32_e32 vcc_lo, 32, v150
	v_cndmask_b32_e32 v149, v149, v150, vcc_lo
	v_lshlrev_b32_e32 v150, 2, v149
	v_and_b32_e32 v149, 31, v0
	s_delay_alu instid0(VALU_DEP_1)
	v_cmp_eq_u32_e32 vcc_lo, 0, v149
	v_lshlrev_b32_e32 v149, 2, v153
	s_waitcnt lgkmcnt(0)
	v_add_f32_e32 v151, v151, v152
	ds_bpermute_b32 v152, v150, v151
	s_and_saveexec_b32 s2, vcc_lo
	s_cbranch_execz .LBB5_2
; %bb.1:
	s_waitcnt lgkmcnt(0)
	v_add_f32_e32 v151, v151, v152
	ds_store_b32 v149, v151
.LBB5_2:
	s_or_b32 exec_lo, exec_lo, s2
	s_waitcnt vmcnt(1)
	v_fma_f32 v141, v141, v1, 0
	s_delay_alu instid0(VALU_DEP_1) | instskip(NEXT) | instid1(VALU_DEP_1)
	v_fmac_f32_e32 v141, v142, v2
	v_fmac_f32_e32 v141, v143, v3
	s_delay_alu instid0(VALU_DEP_1) | instskip(NEXT) | instid1(VALU_DEP_1)
	v_fmac_f32_e32 v141, v144, v4
	v_fmac_f32_e32 v141, v133, v5
	s_delay_alu instid0(VALU_DEP_1) | instskip(NEXT) | instid1(VALU_DEP_1)
	v_fmac_f32_e32 v141, v134, v6
	v_fmac_f32_e32 v141, v135, v7
	s_delay_alu instid0(VALU_DEP_1) | instskip(NEXT) | instid1(VALU_DEP_1)
	v_fmac_f32_e32 v141, v136, v8
	v_fmac_f32_e32 v141, v137, v9
	s_delay_alu instid0(VALU_DEP_1) | instskip(NEXT) | instid1(VALU_DEP_1)
	v_fmac_f32_e32 v141, v138, v10
	v_fmac_f32_e32 v141, v139, v11
	s_delay_alu instid0(VALU_DEP_1) | instskip(NEXT) | instid1(VALU_DEP_1)
	v_fmac_f32_e32 v141, v140, v12
	v_fmac_f32_e32 v141, v121, v13
	s_delay_alu instid0(VALU_DEP_1) | instskip(NEXT) | instid1(VALU_DEP_1)
	v_fmac_f32_e32 v141, v122, v14
	v_fmac_f32_e32 v141, v123, v15
	s_delay_alu instid0(VALU_DEP_1) | instskip(NEXT) | instid1(VALU_DEP_1)
	v_fmac_f32_e32 v141, v124, v16
	v_fmac_f32_e32 v141, v129, v17
	s_delay_alu instid0(VALU_DEP_1) | instskip(NEXT) | instid1(VALU_DEP_1)
	v_fmac_f32_e32 v141, v130, v18
	v_fmac_f32_e32 v141, v131, v19
	s_delay_alu instid0(VALU_DEP_1) | instskip(NEXT) | instid1(VALU_DEP_1)
	v_fmac_f32_e32 v141, v132, v20
	v_fmac_f32_e32 v141, v125, v21
	s_delay_alu instid0(VALU_DEP_1) | instskip(NEXT) | instid1(VALU_DEP_1)
	v_fmac_f32_e32 v141, v126, v22
	v_fmac_f32_e32 v141, v127, v23
	s_delay_alu instid0(VALU_DEP_1)
	v_fmac_f32_e32 v141, v128, v24
	ds_bpermute_b32 v121, v145, v141
	s_waitcnt lgkmcnt(0)
	v_add_f32_e32 v121, v141, v121
	ds_bpermute_b32 v122, v146, v121
	s_waitcnt lgkmcnt(0)
	v_add_f32_e32 v121, v121, v122
	ds_bpermute_b32 v122, v147, v121
	s_waitcnt lgkmcnt(0)
	v_add_f32_e32 v121, v121, v122
	ds_bpermute_b32 v122, v148, v121
	s_waitcnt lgkmcnt(0)
	v_add_f32_e32 v121, v121, v122
	ds_bpermute_b32 v122, v150, v121
	s_and_saveexec_b32 s2, vcc_lo
	s_cbranch_execz .LBB5_4
; %bb.3:
	s_waitcnt lgkmcnt(0)
	v_add_f32_e32 v121, v121, v122
	ds_store_b32 v149, v121 offset:16
.LBB5_4:
	s_or_b32 exec_lo, exec_lo, s2
	v_fma_f32 v117, v117, v1, 0
	s_delay_alu instid0(VALU_DEP_1) | instskip(NEXT) | instid1(VALU_DEP_1)
	v_fmac_f32_e32 v117, v118, v2
	v_fmac_f32_e32 v117, v119, v3
	s_delay_alu instid0(VALU_DEP_1) | instskip(NEXT) | instid1(VALU_DEP_1)
	v_fmac_f32_e32 v117, v120, v4
	v_fmac_f32_e32 v117, v109, v5
	s_delay_alu instid0(VALU_DEP_1) | instskip(NEXT) | instid1(VALU_DEP_1)
	v_fmac_f32_e32 v117, v110, v6
	v_fmac_f32_e32 v117, v111, v7
	s_delay_alu instid0(VALU_DEP_1) | instskip(NEXT) | instid1(VALU_DEP_1)
	v_fmac_f32_e32 v117, v112, v8
	v_fmac_f32_e32 v117, v113, v9
	s_delay_alu instid0(VALU_DEP_1) | instskip(NEXT) | instid1(VALU_DEP_1)
	v_fmac_f32_e32 v117, v114, v10
	v_fmac_f32_e32 v117, v115, v11
	s_delay_alu instid0(VALU_DEP_1) | instskip(NEXT) | instid1(VALU_DEP_1)
	v_fmac_f32_e32 v117, v116, v12
	v_fmac_f32_e32 v117, v101, v13
	s_delay_alu instid0(VALU_DEP_1) | instskip(NEXT) | instid1(VALU_DEP_1)
	v_fmac_f32_e32 v117, v102, v14
	v_fmac_f32_e32 v117, v103, v15
	s_delay_alu instid0(VALU_DEP_1) | instskip(NEXT) | instid1(VALU_DEP_1)
	v_fmac_f32_e32 v117, v104, v16
	v_fmac_f32_e32 v117, v105, v17
	s_delay_alu instid0(VALU_DEP_1) | instskip(NEXT) | instid1(VALU_DEP_1)
	v_fmac_f32_e32 v117, v106, v18
	v_fmac_f32_e32 v117, v107, v19
	s_delay_alu instid0(VALU_DEP_1) | instskip(NEXT) | instid1(VALU_DEP_1)
	v_fmac_f32_e32 v117, v108, v20
	v_fmac_f32_e32 v117, v97, v21
	s_delay_alu instid0(VALU_DEP_1) | instskip(NEXT) | instid1(VALU_DEP_1)
	v_fmac_f32_e32 v117, v98, v22
	v_fmac_f32_e32 v117, v99, v23
	s_delay_alu instid0(VALU_DEP_1)
	v_fmac_f32_e32 v117, v100, v24
	ds_bpermute_b32 v97, v145, v117
	s_waitcnt lgkmcnt(0)
	v_add_f32_e32 v97, v117, v97
	ds_bpermute_b32 v98, v146, v97
	s_waitcnt lgkmcnt(0)
	v_add_f32_e32 v97, v97, v98
	ds_bpermute_b32 v98, v147, v97
	s_waitcnt lgkmcnt(0)
	v_add_f32_e32 v97, v97, v98
	ds_bpermute_b32 v98, v148, v97
	s_waitcnt lgkmcnt(0)
	v_add_f32_e32 v97, v97, v98
	ds_bpermute_b32 v98, v150, v97
	s_and_saveexec_b32 s2, vcc_lo
	s_cbranch_execz .LBB5_6
; %bb.5:
	s_waitcnt lgkmcnt(0)
	v_add_f32_e32 v97, v97, v98
	ds_store_b32 v149, v97 offset:32
.LBB5_6:
	s_or_b32 exec_lo, exec_lo, s2
	;; [unrolled: 57-line block ×4, first 2 shown]
	v_fma_f32 v1, v45, v1, 0
	s_delay_alu instid0(VALU_DEP_1) | instskip(NEXT) | instid1(VALU_DEP_1)
	v_fmac_f32_e32 v1, v46, v2
	v_fmac_f32_e32 v1, v47, v3
	s_delay_alu instid0(VALU_DEP_1) | instskip(NEXT) | instid1(VALU_DEP_1)
	v_fmac_f32_e32 v1, v48, v4
	v_fmac_f32_e32 v1, v29, v5
	;; [unrolled: 3-line block ×9, first 2 shown]
	s_delay_alu instid0(VALU_DEP_1) | instskip(SKIP_1) | instid1(VALU_DEP_1)
	v_fmac_f32_e32 v1, v40, v20
	s_waitcnt vmcnt(0)
	v_fmac_f32_e32 v1, v33, v21
	s_delay_alu instid0(VALU_DEP_1) | instskip(NEXT) | instid1(VALU_DEP_1)
	v_fmac_f32_e32 v1, v34, v22
	v_fmac_f32_e32 v1, v35, v23
	s_delay_alu instid0(VALU_DEP_1)
	v_fmac_f32_e32 v1, v36, v24
	ds_bpermute_b32 v2, v145, v1
	s_waitcnt lgkmcnt(0)
	v_add_f32_e32 v1, v1, v2
	ds_bpermute_b32 v2, v146, v1
	s_waitcnt lgkmcnt(0)
	v_add_f32_e32 v1, v1, v2
	;; [unrolled: 3-line block ×4, first 2 shown]
	ds_bpermute_b32 v2, v150, v1
	s_and_saveexec_b32 s2, vcc_lo
	s_cbranch_execz .LBB5_12
; %bb.11:
	s_waitcnt lgkmcnt(0)
	v_add_f32_e32 v1, v1, v2
	ds_store_b32 v149, v1 offset:80
.LBB5_12:
	s_or_b32 exec_lo, exec_lo, s2
	s_waitcnt lgkmcnt(0)
	s_barrier
	buffer_gl0_inv
	s_mov_b32 s2, exec_lo
	v_cmpx_eq_u32_e32 0, v0
	s_cbranch_execz .LBB5_14
; %bb.13:
	v_dual_mov_b32 v24, 0 :: v_dual_mov_b32 v25, 0x1000
	s_ashr_i32 s5, s4, 31
	ds_load_b128 v[0:3], v24
	ds_load_b128 v[4:7], v24 offset:16
	ds_load_b128 v[8:11], v24 offset:32
	;; [unrolled: 1-line block ×5, first 2 shown]
	s_lshl_b64 s[2:3], s[4:5], 2
	s_delay_alu instid0(SALU_CYCLE_1)
	s_add_u32 s0, s0, s2
	s_addc_u32 s1, s1, s3
	s_waitcnt lgkmcnt(2)
	v_add_f32_e32 v12, 0, v12
	v_add_f32_e32 v4, 0, v4
	;; [unrolled: 1-line block ×3, first 2 shown]
	s_waitcnt lgkmcnt(1)
	v_add_f32_e32 v16, 0, v16
	s_delay_alu instid0(VALU_DEP_2) | instskip(SKIP_1) | instid1(VALU_DEP_2)
	v_add_f32_e32 v0, v0, v1
	v_add_f32_e32 v1, v4, v5
	;; [unrolled: 1-line block ×3, first 2 shown]
	s_waitcnt lgkmcnt(0)
	s_delay_alu instid0(VALU_DEP_2) | instskip(SKIP_1) | instid1(VALU_DEP_3)
	v_dual_add_f32 v1, v1, v6 :: v_dual_add_f32 v20, 0, v20
	v_add_f32_e32 v5, v12, v13
	v_add_f32_e32 v0, v0, v3
	s_delay_alu instid0(VALU_DEP_3) | instskip(NEXT) | instid1(VALU_DEP_1)
	v_dual_add_f32 v1, v1, v7 :: v_dual_add_f32 v8, 0, v8
	v_add_f32_e32 v4, v8, v9
	v_add_f32_e32 v9, v20, v21
	;; [unrolled: 1-line block ×3, first 2 shown]
	s_delay_alu instid0(VALU_DEP_3) | instskip(SKIP_1) | instid1(VALU_DEP_3)
	v_add_f32_e32 v2, v4, v10
	v_add_f32_e32 v4, v5, v14
	;; [unrolled: 1-line block ×4, first 2 shown]
	s_delay_alu instid0(VALU_DEP_4) | instskip(NEXT) | instid1(VALU_DEP_4)
	v_add_f32_e32 v2, v2, v11
	v_add_f32_e32 v3, v4, v15
	s_delay_alu instid0(VALU_DEP_4) | instskip(NEXT) | instid1(VALU_DEP_4)
	v_add_f32_e32 v4, v5, v19
	v_add_f32_e32 v5, v6, v23
	s_clause 0x5
	global_store_b32 v24, v0, s[0:1]
	global_store_b32 v24, v1, s[0:1] offset:1024
	global_store_b32 v24, v2, s[0:1] offset:2048
	;; [unrolled: 1-line block ×3, first 2 shown]
	global_store_b32 v25, v4, s[0:1]
	global_store_b32 v25, v5, s[0:1] offset:1024
.LBB5_14:
	s_nop 0
	s_sendmsg sendmsg(MSG_DEALLOC_VGPRS)
	s_endpgm
	.section	.rodata,"a",@progbits
	.p2align	6, 0x0
	.amdhsa_kernel _Z23fp32_router_gemm_kernelIfLi128ELi6ELi256ELi3072EEvPfPKT_PKf
		.amdhsa_group_segment_fixed_size 96
		.amdhsa_private_segment_fixed_size 0
		.amdhsa_kernarg_size 24
		.amdhsa_user_sgpr_count 15
		.amdhsa_user_sgpr_dispatch_ptr 0
		.amdhsa_user_sgpr_queue_ptr 0
		.amdhsa_user_sgpr_kernarg_segment_ptr 1
		.amdhsa_user_sgpr_dispatch_id 0
		.amdhsa_user_sgpr_private_segment_size 0
		.amdhsa_wavefront_size32 1
		.amdhsa_uses_dynamic_stack 0
		.amdhsa_enable_private_segment 0
		.amdhsa_system_sgpr_workgroup_id_x 1
		.amdhsa_system_sgpr_workgroup_id_y 0
		.amdhsa_system_sgpr_workgroup_id_z 0
		.amdhsa_system_sgpr_workgroup_info 0
		.amdhsa_system_vgpr_workitem_id 0
		.amdhsa_next_free_vgpr 166
		.amdhsa_next_free_sgpr 16
		.amdhsa_reserve_vcc 1
		.amdhsa_float_round_mode_32 0
		.amdhsa_float_round_mode_16_64 0
		.amdhsa_float_denorm_mode_32 3
		.amdhsa_float_denorm_mode_16_64 3
		.amdhsa_dx10_clamp 1
		.amdhsa_ieee_mode 1
		.amdhsa_fp16_overflow 0
		.amdhsa_workgroup_processor_mode 1
		.amdhsa_memory_ordered 1
		.amdhsa_forward_progress 0
		.amdhsa_shared_vgpr_count 0
		.amdhsa_exception_fp_ieee_invalid_op 0
		.amdhsa_exception_fp_denorm_src 0
		.amdhsa_exception_fp_ieee_div_zero 0
		.amdhsa_exception_fp_ieee_overflow 0
		.amdhsa_exception_fp_ieee_underflow 0
		.amdhsa_exception_fp_ieee_inexact 0
		.amdhsa_exception_int_div_zero 0
	.end_amdhsa_kernel
	.section	.text._Z23fp32_router_gemm_kernelIfLi128ELi6ELi256ELi3072EEvPfPKT_PKf,"axG",@progbits,_Z23fp32_router_gemm_kernelIfLi128ELi6ELi256ELi3072EEvPfPKT_PKf,comdat
.Lfunc_end5:
	.size	_Z23fp32_router_gemm_kernelIfLi128ELi6ELi256ELi3072EEvPfPKT_PKf, .Lfunc_end5-_Z23fp32_router_gemm_kernelIfLi128ELi6ELi256ELi3072EEvPfPKT_PKf
                                        ; -- End function
	.section	.AMDGPU.csdata,"",@progbits
; Kernel info:
; codeLenInByte = 2812
; NumSgprs: 18
; NumVgprs: 166
; ScratchSize: 0
; MemoryBound: 0
; FloatMode: 240
; IeeeMode: 1
; LDSByteSize: 96 bytes/workgroup (compile time only)
; SGPRBlocks: 2
; VGPRBlocks: 20
; NumSGPRsForWavesPerEU: 18
; NumVGPRsForWavesPerEU: 166
; Occupancy: 9
; WaveLimiterHint : 1
; COMPUTE_PGM_RSRC2:SCRATCH_EN: 0
; COMPUTE_PGM_RSRC2:USER_SGPR: 15
; COMPUTE_PGM_RSRC2:TRAP_HANDLER: 0
; COMPUTE_PGM_RSRC2:TGID_X_EN: 1
; COMPUTE_PGM_RSRC2:TGID_Y_EN: 0
; COMPUTE_PGM_RSRC2:TGID_Z_EN: 0
; COMPUTE_PGM_RSRC2:TIDIG_COMP_CNT: 0
	.section	.text._Z23fp32_router_gemm_kernelIfLi128ELi7ELi256ELi3072EEvPfPKT_PKf,"axG",@progbits,_Z23fp32_router_gemm_kernelIfLi128ELi7ELi256ELi3072EEvPfPKT_PKf,comdat
	.protected	_Z23fp32_router_gemm_kernelIfLi128ELi7ELi256ELi3072EEvPfPKT_PKf ; -- Begin function _Z23fp32_router_gemm_kernelIfLi128ELi7ELi256ELi3072EEvPfPKT_PKf
	.globl	_Z23fp32_router_gemm_kernelIfLi128ELi7ELi256ELi3072EEvPfPKT_PKf
	.p2align	8
	.type	_Z23fp32_router_gemm_kernelIfLi128ELi7ELi256ELi3072EEvPfPKT_PKf,@function
_Z23fp32_router_gemm_kernelIfLi128ELi7ELi256ELi3072EEvPfPKT_PKf: ; @_Z23fp32_router_gemm_kernelIfLi128ELi7ELi256ELi3072EEvPfPKT_PKf
; %bb.0:
	s_clause 0x1
	s_load_b64 s[6:7], s[0:1], 0x10
	s_load_b128 s[0:3], s[0:1], 0x0
	s_mul_i32 s8, s15, 0xc00
	v_lshlrev_b32_e32 v9, 4, v0
	s_ashr_i32 s9, s8, 31
	s_mov_b32 s4, s15
	s_lshl_b64 s[8:9], s[8:9], 2
	s_waitcnt lgkmcnt(0)
	s_add_u32 s6, s6, s8
	s_addc_u32 s7, s7, s9
	s_clause 0x3
	global_load_b128 v[1:4], v9, s[6:7]
	global_load_b128 v[32:35], v9, s[2:3]
	global_load_b128 v[162:165], v9, s[2:3] offset:2048
	global_load_b128 v[5:8], v9, s[6:7] offset:2048
	v_add_co_u32 v31, s2, s2, v9
	s_delay_alu instid0(VALU_DEP_1) | instskip(SKIP_1) | instid1(VALU_DEP_1)
	v_add_co_ci_u32_e64 v40, null, s3, 0, s2
	v_add_co_u32 v23, s2, s6, v9
	v_add_co_ci_u32_e64 v24, null, s7, 0, s2
	s_delay_alu instid0(VALU_DEP_4) | instskip(NEXT) | instid1(VALU_DEP_4)
	v_add_co_u32 v17, vcc_lo, v31, 0x2000
	v_add_co_ci_u32_e32 v18, vcc_lo, 0, v40, vcc_lo
	s_delay_alu instid0(VALU_DEP_4) | instskip(NEXT) | instid1(VALU_DEP_4)
	v_add_co_u32 v19, vcc_lo, v23, 0x2000
	v_add_co_ci_u32_e32 v20, vcc_lo, 0, v24, vcc_lo
	global_load_b128 v[169:172], v[17:18], off offset:-4096
	global_load_b128 v[9:12], v[19:20], off offset:-4096
	v_add_co_u32 v13, vcc_lo, 0x1000, v31
	v_add_co_ci_u32_e32 v14, vcc_lo, 0, v40, vcc_lo
	v_add_co_u32 v15, vcc_lo, 0x1000, v23
	v_add_co_ci_u32_e32 v16, vcc_lo, 0, v24, vcc_lo
	global_load_b128 v[173:176], v[13:14], off offset:2048
	global_load_b128 v[13:16], v[15:16], off offset:2048
	global_load_b128 v[177:180], v[17:18], off
	global_load_b128 v[17:20], v[19:20], off
	v_add_co_u32 v21, vcc_lo, 0x2000, v31
	v_add_co_ci_u32_e32 v22, vcc_lo, 0, v40, vcc_lo
	v_add_co_u32 v23, vcc_lo, 0x2000, v23
	v_add_co_ci_u32_e32 v24, vcc_lo, 0, v24, vcc_lo
	global_load_b128 v[181:184], v[21:22], off offset:2048
	global_load_b128 v[21:24], v[23:24], off offset:2048
	v_add_co_u32 v25, vcc_lo, 0x4000, v31
	v_add_co_ci_u32_e32 v26, vcc_lo, 0, v40, vcc_lo
	v_add_co_u32 v36, vcc_lo, 0x5000, v31
	v_add_co_ci_u32_e32 v37, vcc_lo, 0, v40, vcc_lo
	;; [unrolled: 2-line block ×24, first 2 shown]
	s_clause 0x4
	global_load_b128 v[141:144], v[25:26], off offset:2048
	global_load_b128 v[157:160], v[27:28], off offset:2048
	;; [unrolled: 1-line block ×5, first 2 shown]
	s_waitcnt vmcnt(15)
	v_fma_f32 v189, v32, v1, 0
	s_clause 0x10
	global_load_b128 v[57:60], v[47:48], off offset:2048
	global_load_b128 v[29:32], v[49:50], off offset:2048
	;; [unrolled: 1-line block ×7, first 2 shown]
	global_load_b128 v[153:156], v[36:37], off
	global_load_b128 v[149:152], v[36:37], off offset:2048
	global_load_b128 v[129:132], v[71:72], off
	global_load_b128 v[121:124], v[71:72], off offset:2048
	;; [unrolled: 2-line block ×4, first 2 shown]
	global_load_b128 v[53:56], v[185:186], off
	global_load_b128 v[37:40], v[65:66], off
	v_fmac_f32_e32 v189, v33, v2
	s_clause 0x7
	global_load_b128 v[45:48], v[65:66], off offset:-4096
	global_load_b128 v[65:68], v[63:64], off
	global_load_b128 v[69:72], v[63:64], off offset:-4096
	global_load_b128 v[89:92], v[61:62], off
	;; [unrolled: 2-line block ×4, first 2 shown]
	v_fmac_f32_e32 v189, v34, v3
	s_delay_alu instid0(VALU_DEP_1) | instskip(SKIP_1) | instid1(VALU_DEP_1)
	v_fmac_f32_e32 v189, v35, v4
	s_waitcnt vmcnt(38)
	v_fmac_f32_e32 v189, v162, v5
	s_delay_alu instid0(VALU_DEP_1) | instskip(NEXT) | instid1(VALU_DEP_1)
	v_fmac_f32_e32 v189, v163, v6
	v_fmac_f32_e32 v189, v164, v7
	s_clause 0x3
	global_load_b128 v[145:148], v[41:42], off offset:-4096
	global_load_b128 v[161:164], v[166:167], off
	global_load_b128 v[61:64], v[185:186], off offset:2048
	global_load_b128 v[41:44], v[187:188], off
	v_fmac_f32_e32 v189, v165, v8
	s_clause 0x1
	global_load_b128 v[165:168], v[166:167], off offset:-4096
	global_load_b128 v[33:36], v[187:188], off offset:2048
	s_waitcnt vmcnt(42)
	v_fmac_f32_e32 v189, v169, v9
	s_delay_alu instid0(VALU_DEP_1) | instskip(NEXT) | instid1(VALU_DEP_1)
	v_fmac_f32_e32 v189, v170, v10
	v_fmac_f32_e32 v189, v171, v11
	s_delay_alu instid0(VALU_DEP_1) | instskip(SKIP_1) | instid1(VALU_DEP_1)
	v_fmac_f32_e32 v189, v172, v12
	s_waitcnt vmcnt(40)
	v_fmac_f32_e32 v189, v173, v13
	v_mbcnt_lo_u32_b32 v173, -1, 0
	s_delay_alu instid0(VALU_DEP_2) | instskip(NEXT) | instid1(VALU_DEP_2)
	v_fmac_f32_e32 v189, v174, v14
	v_xor_b32_e32 v169, 16, v173
	v_xor_b32_e32 v170, 8, v173
	s_delay_alu instid0(VALU_DEP_3) | instskip(NEXT) | instid1(VALU_DEP_3)
	v_fmac_f32_e32 v189, v175, v15
	v_cmp_gt_i32_e32 vcc_lo, 32, v169
	s_delay_alu instid0(VALU_DEP_2) | instskip(SKIP_3) | instid1(VALU_DEP_3)
	v_fmac_f32_e32 v189, v176, v16
	v_cndmask_b32_e32 v169, v173, v169, vcc_lo
	v_cmp_gt_i32_e32 vcc_lo, 32, v170
	s_waitcnt vmcnt(38)
	v_fmac_f32_e32 v189, v177, v17
	v_lshrrev_b32_e32 v177, 5, v0
	v_cndmask_b32_e32 v170, v173, v170, vcc_lo
	s_delay_alu instid0(VALU_DEP_3) | instskip(NEXT) | instid1(VALU_DEP_1)
	v_fmac_f32_e32 v189, v178, v18
	v_dual_fmac_f32 v189, v179, v19 :: v_dual_lshlrev_b32 v170, 2, v170
	s_delay_alu instid0(VALU_DEP_1) | instskip(SKIP_1) | instid1(VALU_DEP_1)
	v_fmac_f32_e32 v189, v180, v20
	s_waitcnt vmcnt(36)
	v_fmac_f32_e32 v189, v181, v21
	s_delay_alu instid0(VALU_DEP_1) | instskip(NEXT) | instid1(VALU_DEP_1)
	v_fmac_f32_e32 v189, v182, v22
	v_fmac_f32_e32 v189, v183, v23
	s_delay_alu instid0(VALU_DEP_1)
	v_fmac_f32_e32 v189, v184, v24
	v_lshlrev_b32_e32 v169, 2, v169
	ds_bpermute_b32 v171, v169, v189
	s_waitcnt lgkmcnt(0)
	v_add_f32_e32 v172, v189, v171
	v_xor_b32_e32 v171, 4, v173
	ds_bpermute_b32 v174, v170, v172
	v_cmp_gt_i32_e32 vcc_lo, 32, v171
	v_cndmask_b32_e32 v171, v173, v171, vcc_lo
	s_waitcnt lgkmcnt(0)
	s_delay_alu instid0(VALU_DEP_1)
	v_dual_add_f32 v174, v172, v174 :: v_dual_lshlrev_b32 v171, 2, v171
	v_xor_b32_e32 v172, 2, v173
	ds_bpermute_b32 v175, v171, v174
	v_cmp_gt_i32_e32 vcc_lo, 32, v172
	v_cndmask_b32_e32 v172, v173, v172, vcc_lo
	s_waitcnt lgkmcnt(0)
	s_delay_alu instid0(VALU_DEP_1) | instskip(SKIP_4) | instid1(VALU_DEP_1)
	v_dual_add_f32 v175, v174, v175 :: v_dual_lshlrev_b32 v172, 2, v172
	v_xor_b32_e32 v174, 1, v173
	ds_bpermute_b32 v176, v172, v175
	v_cmp_gt_i32_e32 vcc_lo, 32, v174
	v_cndmask_b32_e32 v173, v173, v174, vcc_lo
	v_lshlrev_b32_e32 v174, 2, v173
	v_and_b32_e32 v173, 31, v0
	s_delay_alu instid0(VALU_DEP_1)
	v_cmp_eq_u32_e32 vcc_lo, 0, v173
	v_lshlrev_b32_e32 v173, 2, v177
	s_waitcnt lgkmcnt(0)
	v_add_f32_e32 v175, v175, v176
	ds_bpermute_b32 v176, v174, v175
	s_and_saveexec_b32 s2, vcc_lo
	s_cbranch_execz .LBB6_2
; %bb.1:
	s_waitcnt lgkmcnt(0)
	v_add_f32_e32 v175, v175, v176
	ds_store_b32 v173, v175
.LBB6_2:
	s_or_b32 exec_lo, exec_lo, s2
	s_waitcnt vmcnt(1)
	v_fma_f32 v165, v165, v1, 0
	s_delay_alu instid0(VALU_DEP_1) | instskip(NEXT) | instid1(VALU_DEP_1)
	v_fmac_f32_e32 v165, v166, v2
	v_fmac_f32_e32 v165, v167, v3
	s_delay_alu instid0(VALU_DEP_1) | instskip(NEXT) | instid1(VALU_DEP_1)
	v_fmac_f32_e32 v165, v168, v4
	v_fmac_f32_e32 v165, v157, v5
	s_delay_alu instid0(VALU_DEP_1) | instskip(NEXT) | instid1(VALU_DEP_1)
	v_fmac_f32_e32 v165, v158, v6
	v_fmac_f32_e32 v165, v159, v7
	s_delay_alu instid0(VALU_DEP_1) | instskip(NEXT) | instid1(VALU_DEP_1)
	v_fmac_f32_e32 v165, v160, v8
	v_fmac_f32_e32 v165, v161, v9
	s_delay_alu instid0(VALU_DEP_1) | instskip(NEXT) | instid1(VALU_DEP_1)
	v_fmac_f32_e32 v165, v162, v10
	v_fmac_f32_e32 v165, v163, v11
	s_delay_alu instid0(VALU_DEP_1) | instskip(NEXT) | instid1(VALU_DEP_1)
	v_fmac_f32_e32 v165, v164, v12
	v_fmac_f32_e32 v165, v141, v13
	s_delay_alu instid0(VALU_DEP_1) | instskip(NEXT) | instid1(VALU_DEP_1)
	v_fmac_f32_e32 v165, v142, v14
	v_fmac_f32_e32 v165, v143, v15
	s_delay_alu instid0(VALU_DEP_1) | instskip(NEXT) | instid1(VALU_DEP_1)
	v_fmac_f32_e32 v165, v144, v16
	v_fmac_f32_e32 v165, v153, v17
	s_delay_alu instid0(VALU_DEP_1) | instskip(NEXT) | instid1(VALU_DEP_1)
	v_fmac_f32_e32 v165, v154, v18
	v_fmac_f32_e32 v165, v155, v19
	s_delay_alu instid0(VALU_DEP_1) | instskip(NEXT) | instid1(VALU_DEP_1)
	v_fmac_f32_e32 v165, v156, v20
	v_fmac_f32_e32 v165, v149, v21
	s_delay_alu instid0(VALU_DEP_1) | instskip(NEXT) | instid1(VALU_DEP_1)
	v_fmac_f32_e32 v165, v150, v22
	v_fmac_f32_e32 v165, v151, v23
	s_delay_alu instid0(VALU_DEP_1)
	v_fmac_f32_e32 v165, v152, v24
	ds_bpermute_b32 v141, v169, v165
	s_waitcnt lgkmcnt(0)
	v_add_f32_e32 v141, v165, v141
	ds_bpermute_b32 v142, v170, v141
	s_waitcnt lgkmcnt(0)
	v_add_f32_e32 v141, v141, v142
	ds_bpermute_b32 v142, v171, v141
	s_waitcnt lgkmcnt(0)
	v_add_f32_e32 v141, v141, v142
	ds_bpermute_b32 v142, v172, v141
	s_waitcnt lgkmcnt(0)
	v_add_f32_e32 v141, v141, v142
	ds_bpermute_b32 v142, v174, v141
	s_and_saveexec_b32 s2, vcc_lo
	s_cbranch_execz .LBB6_4
; %bb.3:
	s_waitcnt lgkmcnt(0)
	v_add_f32_e32 v141, v141, v142
	ds_store_b32 v173, v141 offset:16
.LBB6_4:
	s_or_b32 exec_lo, exec_lo, s2
	v_fma_f32 v141, v145, v1, 0
	s_delay_alu instid0(VALU_DEP_1) | instskip(NEXT) | instid1(VALU_DEP_1)
	v_fmac_f32_e32 v141, v146, v2
	v_fmac_f32_e32 v141, v147, v3
	s_delay_alu instid0(VALU_DEP_1) | instskip(NEXT) | instid1(VALU_DEP_1)
	v_fmac_f32_e32 v141, v148, v4
	v_fmac_f32_e32 v141, v133, v5
	s_delay_alu instid0(VALU_DEP_1) | instskip(NEXT) | instid1(VALU_DEP_1)
	v_fmac_f32_e32 v141, v134, v6
	v_fmac_f32_e32 v141, v135, v7
	s_delay_alu instid0(VALU_DEP_1) | instskip(NEXT) | instid1(VALU_DEP_1)
	v_fmac_f32_e32 v141, v136, v8
	v_fmac_f32_e32 v141, v137, v9
	s_delay_alu instid0(VALU_DEP_1) | instskip(NEXT) | instid1(VALU_DEP_1)
	v_fmac_f32_e32 v141, v138, v10
	v_fmac_f32_e32 v141, v139, v11
	s_delay_alu instid0(VALU_DEP_1) | instskip(NEXT) | instid1(VALU_DEP_1)
	v_fmac_f32_e32 v141, v140, v12
	v_fmac_f32_e32 v141, v125, v13
	s_delay_alu instid0(VALU_DEP_1) | instskip(NEXT) | instid1(VALU_DEP_1)
	v_fmac_f32_e32 v141, v126, v14
	v_fmac_f32_e32 v141, v127, v15
	s_delay_alu instid0(VALU_DEP_1) | instskip(NEXT) | instid1(VALU_DEP_1)
	v_fmac_f32_e32 v141, v128, v16
	v_fmac_f32_e32 v141, v129, v17
	s_delay_alu instid0(VALU_DEP_1) | instskip(NEXT) | instid1(VALU_DEP_1)
	v_fmac_f32_e32 v141, v130, v18
	v_fmac_f32_e32 v141, v131, v19
	s_delay_alu instid0(VALU_DEP_1) | instskip(NEXT) | instid1(VALU_DEP_1)
	v_fmac_f32_e32 v141, v132, v20
	v_fmac_f32_e32 v141, v121, v21
	s_delay_alu instid0(VALU_DEP_1) | instskip(NEXT) | instid1(VALU_DEP_1)
	v_fmac_f32_e32 v141, v122, v22
	v_fmac_f32_e32 v141, v123, v23
	s_delay_alu instid0(VALU_DEP_1)
	v_fmac_f32_e32 v141, v124, v24
	ds_bpermute_b32 v121, v169, v141
	s_waitcnt lgkmcnt(0)
	v_add_f32_e32 v121, v141, v121
	ds_bpermute_b32 v122, v170, v121
	s_waitcnt lgkmcnt(0)
	v_add_f32_e32 v121, v121, v122
	ds_bpermute_b32 v122, v171, v121
	s_waitcnt lgkmcnt(0)
	v_add_f32_e32 v121, v121, v122
	ds_bpermute_b32 v122, v172, v121
	s_waitcnt lgkmcnt(0)
	v_add_f32_e32 v121, v121, v122
	ds_bpermute_b32 v122, v174, v121
	s_and_saveexec_b32 s2, vcc_lo
	s_cbranch_execz .LBB6_6
; %bb.5:
	s_waitcnt lgkmcnt(0)
	v_add_f32_e32 v121, v121, v122
	ds_store_b32 v173, v121 offset:32
.LBB6_6:
	s_or_b32 exec_lo, exec_lo, s2
	;; [unrolled: 57-line block ×5, first 2 shown]
	v_fma_f32 v1, v45, v1, 0
	s_delay_alu instid0(VALU_DEP_1) | instskip(NEXT) | instid1(VALU_DEP_1)
	v_fmac_f32_e32 v1, v46, v2
	v_fmac_f32_e32 v1, v47, v3
	s_delay_alu instid0(VALU_DEP_1) | instskip(NEXT) | instid1(VALU_DEP_1)
	v_fmac_f32_e32 v1, v48, v4
	v_fmac_f32_e32 v1, v29, v5
	;; [unrolled: 3-line block ×9, first 2 shown]
	s_delay_alu instid0(VALU_DEP_1) | instskip(SKIP_1) | instid1(VALU_DEP_1)
	v_fmac_f32_e32 v1, v44, v20
	s_waitcnt vmcnt(0)
	v_fmac_f32_e32 v1, v33, v21
	s_delay_alu instid0(VALU_DEP_1) | instskip(NEXT) | instid1(VALU_DEP_1)
	v_fmac_f32_e32 v1, v34, v22
	v_fmac_f32_e32 v1, v35, v23
	s_delay_alu instid0(VALU_DEP_1)
	v_fmac_f32_e32 v1, v36, v24
	ds_bpermute_b32 v2, v169, v1
	s_waitcnt lgkmcnt(0)
	v_add_f32_e32 v1, v1, v2
	ds_bpermute_b32 v2, v170, v1
	s_waitcnt lgkmcnt(0)
	v_add_f32_e32 v1, v1, v2
	;; [unrolled: 3-line block ×4, first 2 shown]
	ds_bpermute_b32 v2, v174, v1
	s_and_saveexec_b32 s2, vcc_lo
	s_cbranch_execz .LBB6_14
; %bb.13:
	s_waitcnt lgkmcnt(0)
	v_add_f32_e32 v1, v1, v2
	ds_store_b32 v173, v1 offset:96
.LBB6_14:
	s_or_b32 exec_lo, exec_lo, s2
	s_waitcnt lgkmcnt(0)
	s_barrier
	buffer_gl0_inv
	s_mov_b32 s2, exec_lo
	v_cmpx_eq_u32_e32 0, v0
	s_cbranch_execz .LBB6_16
; %bb.15:
	v_dual_mov_b32 v28, 0 :: v_dual_mov_b32 v29, 0x1000
	s_ashr_i32 s5, s4, 31
	ds_load_b128 v[0:3], v28
	ds_load_b128 v[4:7], v28 offset:16
	ds_load_b128 v[8:11], v28 offset:32
	ds_load_b128 v[12:15], v28 offset:48
	ds_load_b128 v[16:19], v28 offset:64
	ds_load_b128 v[20:23], v28 offset:80
	ds_load_b128 v[24:27], v28 offset:96
	s_lshl_b64 s[2:3], s[4:5], 2
	s_delay_alu instid0(SALU_CYCLE_1)
	s_add_u32 s0, s0, s2
	s_addc_u32 s1, s1, s3
	s_waitcnt lgkmcnt(3)
	v_add_f32_e32 v12, 0, v12
	v_add_f32_e32 v4, 0, v4
	;; [unrolled: 1-line block ×3, first 2 shown]
	s_waitcnt lgkmcnt(2)
	v_add_f32_e32 v16, 0, v16
	s_delay_alu instid0(VALU_DEP_2) | instskip(SKIP_1) | instid1(VALU_DEP_2)
	v_add_f32_e32 v0, v0, v1
	v_add_f32_e32 v1, v4, v5
	v_add_f32_e32 v0, v0, v2
	s_waitcnt lgkmcnt(1)
	s_delay_alu instid0(VALU_DEP_2) | instskip(SKIP_1) | instid1(VALU_DEP_3)
	v_dual_add_f32 v1, v1, v6 :: v_dual_add_f32 v20, 0, v20
	v_add_f32_e32 v5, v12, v13
	v_add_f32_e32 v0, v0, v3
	s_delay_alu instid0(VALU_DEP_3) | instskip(NEXT) | instid1(VALU_DEP_1)
	v_dual_add_f32 v1, v1, v7 :: v_dual_add_f32 v8, 0, v8
	v_add_f32_e32 v4, v8, v9
	v_add_f32_e32 v9, v20, v21
	;; [unrolled: 1-line block ×3, first 2 shown]
	s_delay_alu instid0(VALU_DEP_3) | instskip(SKIP_2) | instid1(VALU_DEP_3)
	v_add_f32_e32 v2, v4, v10
	v_add_f32_e32 v4, v5, v14
	s_waitcnt lgkmcnt(0)
	v_dual_add_f32 v24, 0, v24 :: v_dual_add_f32 v5, v8, v18
	v_add_f32_e32 v6, v9, v22
	v_add_f32_e32 v2, v2, v11
	v_add_f32_e32 v3, v4, v15
	s_delay_alu instid0(VALU_DEP_4) | instskip(SKIP_1) | instid1(VALU_DEP_2)
	v_add_f32_e32 v12, v24, v25
	v_add_f32_e32 v4, v5, v19
	v_dual_add_f32 v5, v6, v23 :: v_dual_add_f32 v8, v12, v26
	s_delay_alu instid0(VALU_DEP_1)
	v_add_f32_e32 v6, v8, v27
	s_clause 0x6
	global_store_b32 v28, v0, s[0:1]
	global_store_b32 v28, v1, s[0:1] offset:1024
	global_store_b32 v28, v2, s[0:1] offset:2048
	;; [unrolled: 1-line block ×3, first 2 shown]
	global_store_b32 v29, v4, s[0:1]
	global_store_b32 v29, v5, s[0:1] offset:1024
	global_store_b32 v29, v6, s[0:1] offset:2048
.LBB6_16:
	s_nop 0
	s_sendmsg sendmsg(MSG_DEALLOC_VGPRS)
	s_endpgm
	.section	.rodata,"a",@progbits
	.p2align	6, 0x0
	.amdhsa_kernel _Z23fp32_router_gemm_kernelIfLi128ELi7ELi256ELi3072EEvPfPKT_PKf
		.amdhsa_group_segment_fixed_size 112
		.amdhsa_private_segment_fixed_size 0
		.amdhsa_kernarg_size 24
		.amdhsa_user_sgpr_count 15
		.amdhsa_user_sgpr_dispatch_ptr 0
		.amdhsa_user_sgpr_queue_ptr 0
		.amdhsa_user_sgpr_kernarg_segment_ptr 1
		.amdhsa_user_sgpr_dispatch_id 0
		.amdhsa_user_sgpr_private_segment_size 0
		.amdhsa_wavefront_size32 1
		.amdhsa_uses_dynamic_stack 0
		.amdhsa_enable_private_segment 0
		.amdhsa_system_sgpr_workgroup_id_x 1
		.amdhsa_system_sgpr_workgroup_id_y 0
		.amdhsa_system_sgpr_workgroup_id_z 0
		.amdhsa_system_sgpr_workgroup_info 0
		.amdhsa_system_vgpr_workitem_id 0
		.amdhsa_next_free_vgpr 190
		.amdhsa_next_free_sgpr 16
		.amdhsa_reserve_vcc 1
		.amdhsa_float_round_mode_32 0
		.amdhsa_float_round_mode_16_64 0
		.amdhsa_float_denorm_mode_32 3
		.amdhsa_float_denorm_mode_16_64 3
		.amdhsa_dx10_clamp 1
		.amdhsa_ieee_mode 1
		.amdhsa_fp16_overflow 0
		.amdhsa_workgroup_processor_mode 1
		.amdhsa_memory_ordered 1
		.amdhsa_forward_progress 0
		.amdhsa_shared_vgpr_count 0
		.amdhsa_exception_fp_ieee_invalid_op 0
		.amdhsa_exception_fp_denorm_src 0
		.amdhsa_exception_fp_ieee_div_zero 0
		.amdhsa_exception_fp_ieee_overflow 0
		.amdhsa_exception_fp_ieee_underflow 0
		.amdhsa_exception_fp_ieee_inexact 0
		.amdhsa_exception_int_div_zero 0
	.end_amdhsa_kernel
	.section	.text._Z23fp32_router_gemm_kernelIfLi128ELi7ELi256ELi3072EEvPfPKT_PKf,"axG",@progbits,_Z23fp32_router_gemm_kernelIfLi128ELi7ELi256ELi3072EEvPfPKT_PKf,comdat
.Lfunc_end6:
	.size	_Z23fp32_router_gemm_kernelIfLi128ELi7ELi256ELi3072EEvPfPKT_PKf, .Lfunc_end6-_Z23fp32_router_gemm_kernelIfLi128ELi7ELi256ELi3072EEvPfPKT_PKf
                                        ; -- End function
	.section	.AMDGPU.csdata,"",@progbits
; Kernel info:
; codeLenInByte = 3208
; NumSgprs: 18
; NumVgprs: 190
; ScratchSize: 0
; MemoryBound: 0
; FloatMode: 240
; IeeeMode: 1
; LDSByteSize: 112 bytes/workgroup (compile time only)
; SGPRBlocks: 2
; VGPRBlocks: 23
; NumSGPRsForWavesPerEU: 18
; NumVGPRsForWavesPerEU: 190
; Occupancy: 8
; WaveLimiterHint : 1
; COMPUTE_PGM_RSRC2:SCRATCH_EN: 0
; COMPUTE_PGM_RSRC2:USER_SGPR: 15
; COMPUTE_PGM_RSRC2:TRAP_HANDLER: 0
; COMPUTE_PGM_RSRC2:TGID_X_EN: 1
; COMPUTE_PGM_RSRC2:TGID_Y_EN: 0
; COMPUTE_PGM_RSRC2:TGID_Z_EN: 0
; COMPUTE_PGM_RSRC2:TIDIG_COMP_CNT: 0
	.section	.text._Z23fp32_router_gemm_kernelIfLi128ELi8ELi256ELi3072EEvPfPKT_PKf,"axG",@progbits,_Z23fp32_router_gemm_kernelIfLi128ELi8ELi256ELi3072EEvPfPKT_PKf,comdat
	.protected	_Z23fp32_router_gemm_kernelIfLi128ELi8ELi256ELi3072EEvPfPKT_PKf ; -- Begin function _Z23fp32_router_gemm_kernelIfLi128ELi8ELi256ELi3072EEvPfPKT_PKf
	.globl	_Z23fp32_router_gemm_kernelIfLi128ELi8ELi256ELi3072EEvPfPKT_PKf
	.p2align	8
	.type	_Z23fp32_router_gemm_kernelIfLi128ELi8ELi256ELi3072EEvPfPKT_PKf,@function
_Z23fp32_router_gemm_kernelIfLi128ELi8ELi256ELi3072EEvPfPKT_PKf: ; @_Z23fp32_router_gemm_kernelIfLi128ELi8ELi256ELi3072EEvPfPKT_PKf
; %bb.0:
	s_clause 0x1
	s_load_b64 s[6:7], s[0:1], 0x10
	s_load_b128 s[0:3], s[0:1], 0x0
	s_mul_i32 s8, s15, 0xc00
	v_lshlrev_b32_e32 v9, 4, v0
	s_ashr_i32 s9, s8, 31
	s_mov_b32 s4, s15
	s_lshl_b64 s[8:9], s[8:9], 2
	s_waitcnt lgkmcnt(0)
	s_add_u32 s6, s6, s8
	s_addc_u32 s7, s7, s9
	s_clause 0x3
	global_load_b128 v[1:4], v9, s[6:7]
	global_load_b128 v[33:36], v9, s[2:3]
	global_load_b128 v[186:189], v9, s[2:3] offset:2048
	global_load_b128 v[5:8], v9, s[6:7] offset:2048
	v_add_co_u32 v53, s2, s2, v9
	s_delay_alu instid0(VALU_DEP_1) | instskip(SKIP_1) | instid1(VALU_DEP_1)
	v_add_co_ci_u32_e64 v54, null, s3, 0, s2
	v_add_co_u32 v23, s2, s6, v9
	v_add_co_ci_u32_e64 v24, null, s7, 0, s2
	s_delay_alu instid0(VALU_DEP_4) | instskip(NEXT) | instid1(VALU_DEP_4)
	v_add_co_u32 v17, vcc_lo, v53, 0x2000
	v_add_co_ci_u32_e32 v18, vcc_lo, 0, v54, vcc_lo
	s_delay_alu instid0(VALU_DEP_4) | instskip(NEXT) | instid1(VALU_DEP_4)
	v_add_co_u32 v19, vcc_lo, v23, 0x2000
	v_add_co_ci_u32_e32 v20, vcc_lo, 0, v24, vcc_lo
	global_load_b128 v[193:196], v[17:18], off offset:-4096
	global_load_b128 v[9:12], v[19:20], off offset:-4096
	v_add_co_u32 v13, vcc_lo, 0x1000, v53
	v_add_co_ci_u32_e32 v14, vcc_lo, 0, v54, vcc_lo
	v_add_co_u32 v15, vcc_lo, 0x1000, v23
	v_add_co_ci_u32_e32 v16, vcc_lo, 0, v24, vcc_lo
	global_load_b128 v[197:200], v[13:14], off offset:2048
	global_load_b128 v[13:16], v[15:16], off offset:2048
	v_add_co_u32 v21, vcc_lo, 0x2000, v53
	global_load_b128 v[201:204], v[17:18], off
	global_load_b128 v[17:20], v[19:20], off
	v_add_co_ci_u32_e32 v22, vcc_lo, 0, v54, vcc_lo
	v_add_co_u32 v25, vcc_lo, 0x4000, v53
	v_add_co_ci_u32_e32 v26, vcc_lo, 0, v54, vcc_lo
	v_add_co_u32 v27, vcc_lo, 0x3000, v53
	;; [unrolled: 2-line block ×5, first 2 shown]
	v_add_co_ci_u32_e32 v24, vcc_lo, 0, v24, vcc_lo
	global_load_b128 v[205:208], v[21:22], off offset:2048
	global_load_b128 v[21:24], v[23:24], off offset:2048
	v_add_co_u32 v29, vcc_lo, 0x6000, v53
	v_add_co_ci_u32_e32 v30, vcc_lo, 0, v54, vcc_lo
	v_add_co_u32 v41, vcc_lo, v53, 0x7000
	v_add_co_ci_u32_e32 v42, vcc_lo, 0, v54, vcc_lo
	;; [unrolled: 2-line block ×24, first 2 shown]
	s_clause 0x1f
	global_load_b128 v[165:168], v[25:26], off offset:2048
	global_load_b128 v[181:184], v[27:28], off offset:2048
	;; [unrolled: 1-line block ×14, first 2 shown]
	global_load_b128 v[177:180], v[37:38], off
	global_load_b128 v[169:172], v[37:38], off offset:2048
	global_load_b128 v[153:156], v[79:80], off
	global_load_b128 v[145:148], v[79:80], off offset:2048
	;; [unrolled: 2-line block ×5, first 2 shown]
	global_load_b128 v[57:60], v[209:210], off
	global_load_b128 v[37:40], v[65:66], off
	global_load_b128 v[45:48], v[65:66], off offset:-4096
	global_load_b128 v[65:68], v[69:70], off
	global_load_b128 v[69:72], v[69:70], off offset:-4096
	;; [unrolled: 2-line block ×3, first 2 shown]
	global_load_b128 v[113:116], v[61:62], off
	s_clause 0x3
	global_load_b128 v[117:120], v[61:62], off offset:-4096
	global_load_b128 v[137:140], v[43:44], off
	global_load_b128 v[141:144], v[43:44], off offset:-4096
	global_load_b128 v[161:164], v[41:42], off
	s_waitcnt vmcnt(46)
	v_fma_f32 v213, v33, v1, 0
	s_delay_alu instid0(VALU_DEP_1) | instskip(NEXT) | instid1(VALU_DEP_1)
	v_fmac_f32_e32 v213, v34, v2
	v_fmac_f32_e32 v213, v35, v3
	s_delay_alu instid0(VALU_DEP_1) | instskip(SKIP_1) | instid1(VALU_DEP_1)
	v_fmac_f32_e32 v213, v36, v4
	s_waitcnt vmcnt(44)
	v_fmac_f32_e32 v213, v186, v5
	s_delay_alu instid0(VALU_DEP_1) | instskip(NEXT) | instid1(VALU_DEP_1)
	v_fmac_f32_e32 v213, v187, v6
	v_fmac_f32_e32 v213, v188, v7
	s_clause 0x3
	global_load_b128 v[173:176], v[41:42], off offset:-4096
	global_load_b128 v[185:188], v[190:191], off
	global_load_b128 v[61:64], v[209:210], off offset:2048
	global_load_b128 v[41:44], v[211:212], off
	v_fmac_f32_e32 v213, v189, v8
	s_clause 0x1
	global_load_b128 v[189:192], v[190:191], off offset:-4096
	global_load_b128 v[33:36], v[211:212], off offset:2048
	s_waitcnt vmcnt(48)
	v_fmac_f32_e32 v213, v193, v9
	s_delay_alu instid0(VALU_DEP_1) | instskip(NEXT) | instid1(VALU_DEP_1)
	v_fmac_f32_e32 v213, v194, v10
	v_fmac_f32_e32 v213, v195, v11
	s_delay_alu instid0(VALU_DEP_1) | instskip(SKIP_1) | instid1(VALU_DEP_1)
	v_fmac_f32_e32 v213, v196, v12
	s_waitcnt vmcnt(46)
	v_fmac_f32_e32 v213, v197, v13
	v_mbcnt_lo_u32_b32 v197, -1, 0
	s_delay_alu instid0(VALU_DEP_2) | instskip(NEXT) | instid1(VALU_DEP_2)
	v_fmac_f32_e32 v213, v198, v14
	v_xor_b32_e32 v193, 16, v197
	v_xor_b32_e32 v194, 8, v197
	s_delay_alu instid0(VALU_DEP_3) | instskip(NEXT) | instid1(VALU_DEP_3)
	v_fmac_f32_e32 v213, v199, v15
	v_cmp_gt_i32_e32 vcc_lo, 32, v193
	s_delay_alu instid0(VALU_DEP_2) | instskip(SKIP_3) | instid1(VALU_DEP_3)
	v_fmac_f32_e32 v213, v200, v16
	v_cndmask_b32_e32 v193, v197, v193, vcc_lo
	v_cmp_gt_i32_e32 vcc_lo, 32, v194
	s_waitcnt vmcnt(44)
	v_fmac_f32_e32 v213, v201, v17
	v_lshrrev_b32_e32 v201, 5, v0
	v_cndmask_b32_e32 v194, v197, v194, vcc_lo
	s_delay_alu instid0(VALU_DEP_3) | instskip(NEXT) | instid1(VALU_DEP_1)
	v_fmac_f32_e32 v213, v202, v18
	v_dual_fmac_f32 v213, v203, v19 :: v_dual_lshlrev_b32 v194, 2, v194
	s_delay_alu instid0(VALU_DEP_1) | instskip(SKIP_1) | instid1(VALU_DEP_1)
	v_fmac_f32_e32 v213, v204, v20
	s_waitcnt vmcnt(42)
	v_fmac_f32_e32 v213, v205, v21
	s_delay_alu instid0(VALU_DEP_1) | instskip(NEXT) | instid1(VALU_DEP_1)
	v_fmac_f32_e32 v213, v206, v22
	v_fmac_f32_e32 v213, v207, v23
	s_delay_alu instid0(VALU_DEP_1)
	v_fmac_f32_e32 v213, v208, v24
	v_lshlrev_b32_e32 v193, 2, v193
	ds_bpermute_b32 v195, v193, v213
	s_waitcnt lgkmcnt(0)
	v_add_f32_e32 v196, v213, v195
	v_xor_b32_e32 v195, 4, v197
	ds_bpermute_b32 v198, v194, v196
	v_cmp_gt_i32_e32 vcc_lo, 32, v195
	v_cndmask_b32_e32 v195, v197, v195, vcc_lo
	s_waitcnt lgkmcnt(0)
	s_delay_alu instid0(VALU_DEP_1)
	v_dual_add_f32 v198, v196, v198 :: v_dual_lshlrev_b32 v195, 2, v195
	v_xor_b32_e32 v196, 2, v197
	ds_bpermute_b32 v199, v195, v198
	v_cmp_gt_i32_e32 vcc_lo, 32, v196
	v_cndmask_b32_e32 v196, v197, v196, vcc_lo
	s_waitcnt lgkmcnt(0)
	s_delay_alu instid0(VALU_DEP_1) | instskip(SKIP_4) | instid1(VALU_DEP_1)
	v_dual_add_f32 v199, v198, v199 :: v_dual_lshlrev_b32 v196, 2, v196
	v_xor_b32_e32 v198, 1, v197
	ds_bpermute_b32 v200, v196, v199
	v_cmp_gt_i32_e32 vcc_lo, 32, v198
	v_cndmask_b32_e32 v197, v197, v198, vcc_lo
	v_lshlrev_b32_e32 v198, 2, v197
	v_and_b32_e32 v197, 31, v0
	s_delay_alu instid0(VALU_DEP_1)
	v_cmp_eq_u32_e32 vcc_lo, 0, v197
	v_lshlrev_b32_e32 v197, 2, v201
	s_waitcnt lgkmcnt(0)
	v_add_f32_e32 v199, v199, v200
	ds_bpermute_b32 v200, v198, v199
	s_and_saveexec_b32 s2, vcc_lo
	s_cbranch_execz .LBB7_2
; %bb.1:
	s_waitcnt lgkmcnt(0)
	v_add_f32_e32 v199, v199, v200
	ds_store_b32 v197, v199
.LBB7_2:
	s_or_b32 exec_lo, exec_lo, s2
	s_waitcnt vmcnt(1)
	v_fma_f32 v189, v189, v1, 0
	s_delay_alu instid0(VALU_DEP_1) | instskip(NEXT) | instid1(VALU_DEP_1)
	v_fmac_f32_e32 v189, v190, v2
	v_fmac_f32_e32 v189, v191, v3
	s_delay_alu instid0(VALU_DEP_1) | instskip(NEXT) | instid1(VALU_DEP_1)
	v_fmac_f32_e32 v189, v192, v4
	v_fmac_f32_e32 v189, v181, v5
	s_delay_alu instid0(VALU_DEP_1) | instskip(NEXT) | instid1(VALU_DEP_1)
	v_fmac_f32_e32 v189, v182, v6
	v_fmac_f32_e32 v189, v183, v7
	s_delay_alu instid0(VALU_DEP_1) | instskip(NEXT) | instid1(VALU_DEP_1)
	v_fmac_f32_e32 v189, v184, v8
	v_fmac_f32_e32 v189, v185, v9
	s_delay_alu instid0(VALU_DEP_1) | instskip(NEXT) | instid1(VALU_DEP_1)
	v_fmac_f32_e32 v189, v186, v10
	v_fmac_f32_e32 v189, v187, v11
	s_delay_alu instid0(VALU_DEP_1) | instskip(NEXT) | instid1(VALU_DEP_1)
	v_fmac_f32_e32 v189, v188, v12
	v_fmac_f32_e32 v189, v165, v13
	s_delay_alu instid0(VALU_DEP_1) | instskip(NEXT) | instid1(VALU_DEP_1)
	v_fmac_f32_e32 v189, v166, v14
	v_fmac_f32_e32 v189, v167, v15
	s_delay_alu instid0(VALU_DEP_1) | instskip(NEXT) | instid1(VALU_DEP_1)
	v_fmac_f32_e32 v189, v168, v16
	v_fmac_f32_e32 v189, v177, v17
	s_delay_alu instid0(VALU_DEP_1) | instskip(NEXT) | instid1(VALU_DEP_1)
	v_fmac_f32_e32 v189, v178, v18
	v_fmac_f32_e32 v189, v179, v19
	s_delay_alu instid0(VALU_DEP_1) | instskip(NEXT) | instid1(VALU_DEP_1)
	v_fmac_f32_e32 v189, v180, v20
	v_fmac_f32_e32 v189, v169, v21
	s_delay_alu instid0(VALU_DEP_1) | instskip(NEXT) | instid1(VALU_DEP_1)
	v_fmac_f32_e32 v189, v170, v22
	v_fmac_f32_e32 v189, v171, v23
	s_delay_alu instid0(VALU_DEP_1)
	v_fmac_f32_e32 v189, v172, v24
	ds_bpermute_b32 v165, v193, v189
	s_waitcnt lgkmcnt(0)
	v_add_f32_e32 v165, v189, v165
	ds_bpermute_b32 v166, v194, v165
	s_waitcnt lgkmcnt(0)
	v_add_f32_e32 v165, v165, v166
	ds_bpermute_b32 v166, v195, v165
	s_waitcnt lgkmcnt(0)
	v_add_f32_e32 v165, v165, v166
	ds_bpermute_b32 v166, v196, v165
	s_waitcnt lgkmcnt(0)
	v_add_f32_e32 v165, v165, v166
	ds_bpermute_b32 v166, v198, v165
	s_and_saveexec_b32 s2, vcc_lo
	s_cbranch_execz .LBB7_4
; %bb.3:
	s_waitcnt lgkmcnt(0)
	v_add_f32_e32 v165, v165, v166
	ds_store_b32 v197, v165 offset:16
.LBB7_4:
	s_or_b32 exec_lo, exec_lo, s2
	v_fma_f32 v165, v173, v1, 0
	s_delay_alu instid0(VALU_DEP_1) | instskip(NEXT) | instid1(VALU_DEP_1)
	v_fmac_f32_e32 v165, v174, v2
	v_fmac_f32_e32 v165, v175, v3
	s_delay_alu instid0(VALU_DEP_1) | instskip(NEXT) | instid1(VALU_DEP_1)
	v_fmac_f32_e32 v165, v176, v4
	v_fmac_f32_e32 v165, v157, v5
	s_delay_alu instid0(VALU_DEP_1) | instskip(NEXT) | instid1(VALU_DEP_1)
	v_fmac_f32_e32 v165, v158, v6
	v_fmac_f32_e32 v165, v159, v7
	s_delay_alu instid0(VALU_DEP_1) | instskip(NEXT) | instid1(VALU_DEP_1)
	v_fmac_f32_e32 v165, v160, v8
	v_fmac_f32_e32 v165, v161, v9
	s_delay_alu instid0(VALU_DEP_1) | instskip(NEXT) | instid1(VALU_DEP_1)
	v_fmac_f32_e32 v165, v162, v10
	v_fmac_f32_e32 v165, v163, v11
	s_delay_alu instid0(VALU_DEP_1) | instskip(NEXT) | instid1(VALU_DEP_1)
	v_fmac_f32_e32 v165, v164, v12
	v_fmac_f32_e32 v165, v149, v13
	s_delay_alu instid0(VALU_DEP_1) | instskip(NEXT) | instid1(VALU_DEP_1)
	v_fmac_f32_e32 v165, v150, v14
	v_fmac_f32_e32 v165, v151, v15
	s_delay_alu instid0(VALU_DEP_1) | instskip(NEXT) | instid1(VALU_DEP_1)
	v_fmac_f32_e32 v165, v152, v16
	v_fmac_f32_e32 v165, v153, v17
	s_delay_alu instid0(VALU_DEP_1) | instskip(NEXT) | instid1(VALU_DEP_1)
	v_fmac_f32_e32 v165, v154, v18
	v_fmac_f32_e32 v165, v155, v19
	s_delay_alu instid0(VALU_DEP_1) | instskip(NEXT) | instid1(VALU_DEP_1)
	v_fmac_f32_e32 v165, v156, v20
	v_fmac_f32_e32 v165, v145, v21
	s_delay_alu instid0(VALU_DEP_1) | instskip(NEXT) | instid1(VALU_DEP_1)
	v_fmac_f32_e32 v165, v146, v22
	v_fmac_f32_e32 v165, v147, v23
	s_delay_alu instid0(VALU_DEP_1)
	v_fmac_f32_e32 v165, v148, v24
	ds_bpermute_b32 v145, v193, v165
	s_waitcnt lgkmcnt(0)
	v_add_f32_e32 v145, v165, v145
	ds_bpermute_b32 v146, v194, v145
	s_waitcnt lgkmcnt(0)
	v_add_f32_e32 v145, v145, v146
	ds_bpermute_b32 v146, v195, v145
	s_waitcnt lgkmcnt(0)
	v_add_f32_e32 v145, v145, v146
	ds_bpermute_b32 v146, v196, v145
	s_waitcnt lgkmcnt(0)
	v_add_f32_e32 v145, v145, v146
	ds_bpermute_b32 v146, v198, v145
	s_and_saveexec_b32 s2, vcc_lo
	s_cbranch_execz .LBB7_6
; %bb.5:
	s_waitcnt lgkmcnt(0)
	v_add_f32_e32 v145, v145, v146
	ds_store_b32 v197, v145 offset:32
.LBB7_6:
	s_or_b32 exec_lo, exec_lo, s2
	;; [unrolled: 57-line block ×6, first 2 shown]
	v_fma_f32 v1, v45, v1, 0
	s_delay_alu instid0(VALU_DEP_1) | instskip(NEXT) | instid1(VALU_DEP_1)
	v_fmac_f32_e32 v1, v46, v2
	v_fmac_f32_e32 v1, v47, v3
	s_delay_alu instid0(VALU_DEP_1) | instskip(NEXT) | instid1(VALU_DEP_1)
	v_fmac_f32_e32 v1, v48, v4
	v_fmac_f32_e32 v1, v29, v5
	;; [unrolled: 3-line block ×9, first 2 shown]
	s_delay_alu instid0(VALU_DEP_1) | instskip(SKIP_1) | instid1(VALU_DEP_1)
	v_fmac_f32_e32 v1, v44, v20
	s_waitcnt vmcnt(0)
	v_fmac_f32_e32 v1, v33, v21
	s_delay_alu instid0(VALU_DEP_1) | instskip(NEXT) | instid1(VALU_DEP_1)
	v_fmac_f32_e32 v1, v34, v22
	v_fmac_f32_e32 v1, v35, v23
	s_delay_alu instid0(VALU_DEP_1)
	v_fmac_f32_e32 v1, v36, v24
	ds_bpermute_b32 v2, v193, v1
	s_waitcnt lgkmcnt(0)
	v_add_f32_e32 v1, v1, v2
	ds_bpermute_b32 v2, v194, v1
	s_waitcnt lgkmcnt(0)
	v_add_f32_e32 v1, v1, v2
	;; [unrolled: 3-line block ×4, first 2 shown]
	ds_bpermute_b32 v2, v198, v1
	s_and_saveexec_b32 s2, vcc_lo
	s_cbranch_execz .LBB7_16
; %bb.15:
	s_waitcnt lgkmcnt(0)
	v_add_f32_e32 v1, v1, v2
	ds_store_b32 v197, v1 offset:112
.LBB7_16:
	s_or_b32 exec_lo, exec_lo, s2
	s_waitcnt lgkmcnt(0)
	s_barrier
	buffer_gl0_inv
	s_mov_b32 s2, exec_lo
	v_cmpx_eq_u32_e32 0, v0
	s_cbranch_execz .LBB7_18
; %bb.17:
	v_mov_b32_e32 v32, 0
	s_ashr_i32 s5, s4, 31
	ds_load_b128 v[0:3], v32
	ds_load_b128 v[4:7], v32 offset:16
	ds_load_b128 v[8:11], v32 offset:32
	;; [unrolled: 1-line block ×7, first 2 shown]
	s_lshl_b64 s[2:3], s[4:5], 2
	s_delay_alu instid0(SALU_CYCLE_1)
	s_add_u32 s0, s0, s2
	s_addc_u32 s1, s1, s3
	s_waitcnt lgkmcnt(4)
	v_add_f32_e32 v12, 0, v12
	v_add_f32_e32 v0, 0, v0
	s_waitcnt lgkmcnt(2)
	v_add_f32_e32 v20, 0, v20
	v_add_f32_e32 v4, 0, v4
	;; [unrolled: 3-line block ×3, first 2 shown]
	v_add_f32_e32 v0, v0, v1
	v_dual_add_f32 v16, 0, v16 :: v_dual_add_f32 v1, v4, v5
	s_delay_alu instid0(VALU_DEP_2) | instskip(NEXT) | instid1(VALU_DEP_2)
	v_add_f32_e32 v0, v0, v2
	v_dual_add_f32 v1, v1, v6 :: v_dual_add_f32 v24, 0, v24
	v_add_f32_e32 v5, v12, v13
	v_add_f32_e32 v13, v28, v29
	s_delay_alu instid0(VALU_DEP_3) | instskip(SKIP_3) | instid1(VALU_DEP_4)
	v_dual_add_f32 v4, v8, v9 :: v_dual_add_f32 v1, v1, v7
	v_add_f32_e32 v8, v16, v17
	v_add_f32_e32 v12, v24, v25
	;; [unrolled: 1-line block ×8, first 2 shown]
	v_dual_add_f32 v9, v13, v30 :: v_dual_add_f32 v0, v0, v3
	v_add_f32_e32 v2, v2, v11
	s_delay_alu instid0(VALU_DEP_4)
	v_add_f32_e32 v7, v8, v27
	v_add_f32_e32 v3, v4, v15
	v_dual_add_f32 v4, v5, v19 :: v_dual_mov_b32 v5, 0x1000
	v_add_f32_e32 v6, v6, v23
	v_add_f32_e32 v8, v9, v31
	s_clause 0x7
	global_store_b32 v32, v0, s[0:1]
	global_store_b32 v32, v1, s[0:1] offset:1024
	global_store_b32 v32, v2, s[0:1] offset:2048
	;; [unrolled: 1-line block ×3, first 2 shown]
	global_store_b32 v5, v4, s[0:1]
	global_store_b32 v5, v6, s[0:1] offset:1024
	global_store_b32 v5, v7, s[0:1] offset:2048
	;; [unrolled: 1-line block ×3, first 2 shown]
.LBB7_18:
	s_nop 0
	s_sendmsg sendmsg(MSG_DEALLOC_VGPRS)
	s_endpgm
	.section	.rodata,"a",@progbits
	.p2align	6, 0x0
	.amdhsa_kernel _Z23fp32_router_gemm_kernelIfLi128ELi8ELi256ELi3072EEvPfPKT_PKf
		.amdhsa_group_segment_fixed_size 128
		.amdhsa_private_segment_fixed_size 0
		.amdhsa_kernarg_size 24
		.amdhsa_user_sgpr_count 15
		.amdhsa_user_sgpr_dispatch_ptr 0
		.amdhsa_user_sgpr_queue_ptr 0
		.amdhsa_user_sgpr_kernarg_segment_ptr 1
		.amdhsa_user_sgpr_dispatch_id 0
		.amdhsa_user_sgpr_private_segment_size 0
		.amdhsa_wavefront_size32 1
		.amdhsa_uses_dynamic_stack 0
		.amdhsa_enable_private_segment 0
		.amdhsa_system_sgpr_workgroup_id_x 1
		.amdhsa_system_sgpr_workgroup_id_y 0
		.amdhsa_system_sgpr_workgroup_id_z 0
		.amdhsa_system_sgpr_workgroup_info 0
		.amdhsa_system_vgpr_workitem_id 0
		.amdhsa_next_free_vgpr 214
		.amdhsa_next_free_sgpr 16
		.amdhsa_reserve_vcc 1
		.amdhsa_float_round_mode_32 0
		.amdhsa_float_round_mode_16_64 0
		.amdhsa_float_denorm_mode_32 3
		.amdhsa_float_denorm_mode_16_64 3
		.amdhsa_dx10_clamp 1
		.amdhsa_ieee_mode 1
		.amdhsa_fp16_overflow 0
		.amdhsa_workgroup_processor_mode 1
		.amdhsa_memory_ordered 1
		.amdhsa_forward_progress 0
		.amdhsa_shared_vgpr_count 0
		.amdhsa_exception_fp_ieee_invalid_op 0
		.amdhsa_exception_fp_denorm_src 0
		.amdhsa_exception_fp_ieee_div_zero 0
		.amdhsa_exception_fp_ieee_overflow 0
		.amdhsa_exception_fp_ieee_underflow 0
		.amdhsa_exception_fp_ieee_inexact 0
		.amdhsa_exception_int_div_zero 0
	.end_amdhsa_kernel
	.section	.text._Z23fp32_router_gemm_kernelIfLi128ELi8ELi256ELi3072EEvPfPKT_PKf,"axG",@progbits,_Z23fp32_router_gemm_kernelIfLi128ELi8ELi256ELi3072EEvPfPKT_PKf,comdat
.Lfunc_end7:
	.size	_Z23fp32_router_gemm_kernelIfLi128ELi8ELi256ELi3072EEvPfPKT_PKf, .Lfunc_end7-_Z23fp32_router_gemm_kernelIfLi128ELi8ELi256ELi3072EEvPfPKT_PKf
                                        ; -- End function
	.section	.AMDGPU.csdata,"",@progbits
; Kernel info:
; codeLenInByte = 3584
; NumSgprs: 18
; NumVgprs: 214
; ScratchSize: 0
; MemoryBound: 0
; FloatMode: 240
; IeeeMode: 1
; LDSByteSize: 128 bytes/workgroup (compile time only)
; SGPRBlocks: 2
; VGPRBlocks: 26
; NumSGPRsForWavesPerEU: 18
; NumVGPRsForWavesPerEU: 214
; Occupancy: 7
; WaveLimiterHint : 1
; COMPUTE_PGM_RSRC2:SCRATCH_EN: 0
; COMPUTE_PGM_RSRC2:USER_SGPR: 15
; COMPUTE_PGM_RSRC2:TRAP_HANDLER: 0
; COMPUTE_PGM_RSRC2:TGID_X_EN: 1
; COMPUTE_PGM_RSRC2:TGID_Y_EN: 0
; COMPUTE_PGM_RSRC2:TGID_Z_EN: 0
; COMPUTE_PGM_RSRC2:TIDIG_COMP_CNT: 0
	.section	.text._Z23fp32_router_gemm_kernelIfLi128ELi9ELi256ELi3072EEvPfPKT_PKf,"axG",@progbits,_Z23fp32_router_gemm_kernelIfLi128ELi9ELi256ELi3072EEvPfPKT_PKf,comdat
	.protected	_Z23fp32_router_gemm_kernelIfLi128ELi9ELi256ELi3072EEvPfPKT_PKf ; -- Begin function _Z23fp32_router_gemm_kernelIfLi128ELi9ELi256ELi3072EEvPfPKT_PKf
	.globl	_Z23fp32_router_gemm_kernelIfLi128ELi9ELi256ELi3072EEvPfPKT_PKf
	.p2align	8
	.type	_Z23fp32_router_gemm_kernelIfLi128ELi9ELi256ELi3072EEvPfPKT_PKf,@function
_Z23fp32_router_gemm_kernelIfLi128ELi9ELi256ELi3072EEvPfPKT_PKf: ; @_Z23fp32_router_gemm_kernelIfLi128ELi9ELi256ELi3072EEvPfPKT_PKf
; %bb.0:
	s_clause 0x1
	s_load_b64 s[6:7], s[0:1], 0x10
	s_load_b128 s[0:3], s[0:1], 0x0
	v_dual_mov_b32 v9, 0 :: v_dual_lshlrev_b32 v10, 2, v0
	s_mul_i32 s8, s15, 0xc00
	v_dual_mov_b32 v8, 0 :: v_dual_mov_b32 v7, 0
	s_ashr_i32 s9, s8, 31
	s_delay_alu instid0(VALU_DEP_2)
	v_or_b32_e32 v11, 0x200, v10
	v_or_b32_e32 v12, 0x400, v10
	v_or_b32_e32 v13, 0x600, v10
	v_or_b32_e32 v14, 0x800, v10
	v_or_b32_e32 v15, 0xa00, v10
	s_lshl_b64 s[8:9], s[8:9], 2
	v_dual_mov_b32 v6, 0 :: v_dual_mov_b32 v5, 0
	v_dual_mov_b32 v4, 0 :: v_dual_mov_b32 v3, 0
	;; [unrolled: 1-line block ×3, first 2 shown]
	s_waitcnt lgkmcnt(0)
	s_add_u32 s6, s6, s8
	s_mov_b32 s4, s15
	s_addc_u32 s7, s7, s9
	s_mov_b64 s[8:9], 0
.LBB8_1:                                ; =>This Inner Loop Header: Depth=1
	s_delay_alu instid0(SALU_CYCLE_1)
	s_cmp_eq_u32 s8, 1
	s_cselect_b32 vcc_lo, -1, 0
	s_cmp_eq_u32 s8, 2
	v_cndmask_b32_e32 v16, v10, v11, vcc_lo
	s_cselect_b32 vcc_lo, -1, 0
	s_cmp_eq_u32 s8, 3
	s_delay_alu instid0(VALU_DEP_1) | instskip(SKIP_2) | instid1(VALU_DEP_1)
	v_cndmask_b32_e32 v16, v16, v12, vcc_lo
	s_cselect_b32 vcc_lo, -1, 0
	s_cmp_eq_u32 s8, 4
	v_cndmask_b32_e32 v16, v16, v13, vcc_lo
	s_cselect_b32 vcc_lo, -1, 0
	s_cmp_eq_u32 s8, 5
	s_delay_alu instid0(VALU_DEP_1)
	v_cndmask_b32_e32 v16, v16, v14, vcc_lo
	s_cselect_b32 vcc_lo, -1, 0
	s_add_u32 s8, s8, 1
	s_addc_u32 s9, s9, 0
	s_cmp_eq_u32 s8, 6
	v_cndmask_b32_e32 v16, v16, v15, vcc_lo
	s_delay_alu instid0(VALU_DEP_1) | instskip(NEXT) | instid1(VALU_DEP_1)
	v_lshlrev_b32_e32 v20, 2, v16
	v_add_co_u32 v26, s5, s2, v20
	s_delay_alu instid0(VALU_DEP_1)
	v_add_co_ci_u32_e64 v27, null, s3, 0, s5
	s_clause 0x1
	global_load_b128 v[16:19], v20, s[6:7]
	global_load_b128 v[20:23], v20, s[2:3]
	v_add_co_u32 v24, vcc_lo, 0x3000, v26
	v_add_co_ci_u32_e32 v25, vcc_lo, 0, v27, vcc_lo
	v_add_co_u32 v28, vcc_lo, 0x6000, v26
	v_add_co_ci_u32_e32 v29, vcc_lo, 0, v27, vcc_lo
	;; [unrolled: 2-line block ×8, first 2 shown]
	s_clause 0x7
	global_load_b128 v[24:27], v[24:25], off
	global_load_b128 v[28:31], v[28:29], off
	;; [unrolled: 1-line block ×8, first 2 shown]
	s_waitcnt vmcnt(5)
	v_fmac_f32_e32 v6, v32, v16
	v_fmac_f32_e32 v7, v28, v16
	s_waitcnt vmcnt(3)
	v_fmac_f32_e32 v4, v40, v16
	v_fmac_f32_e32 v5, v36, v16
	s_waitcnt vmcnt(1)
	v_fmac_f32_e32 v2, v48, v16
	s_waitcnt vmcnt(0)
	v_fmac_f32_e32 v1, v52, v16
	v_fmac_f32_e32 v8, v24, v16
	v_dual_fmac_f32 v3, v44, v16 :: v_dual_fmac_f32 v6, v33, v17
	v_fmac_f32_e32 v2, v49, v17
	s_delay_alu instid0(VALU_DEP_4) | instskip(NEXT) | instid1(VALU_DEP_4)
	v_fmac_f32_e32 v1, v53, v17
	v_dual_fmac_f32 v9, v20, v16 :: v_dual_fmac_f32 v8, v25, v17
	v_fmac_f32_e32 v7, v29, v17
	v_fmac_f32_e32 v4, v41, v17
	v_fmac_f32_e32 v5, v37, v17
	s_delay_alu instid0(VALU_DEP_4) | instskip(SKIP_3) | instid1(VALU_DEP_4)
	v_fmac_f32_e32 v9, v21, v17
	v_dual_fmac_f32 v3, v45, v17 :: v_dual_fmac_f32 v8, v26, v18
	v_fmac_f32_e32 v7, v30, v18
	v_fmac_f32_e32 v6, v34, v18
	;; [unrolled: 1-line block ×7, first 2 shown]
	v_dual_fmac_f32 v1, v54, v18 :: v_dual_fmac_f32 v8, v27, v19
	v_fmac_f32_e32 v9, v23, v19
	v_fmac_f32_e32 v7, v31, v19
	;; [unrolled: 1-line block ×8, first 2 shown]
	s_cbranch_scc0 .LBB8_1
; %bb.2:
	v_mbcnt_lo_u32_b32 v13, -1, 0
	v_lshrrev_b32_e32 v17, 5, v0
	s_delay_alu instid0(VALU_DEP_2) | instskip(SKIP_1) | instid1(VALU_DEP_2)
	v_xor_b32_e32 v10, 16, v13
	v_xor_b32_e32 v11, 8, v13
	v_cmp_gt_i32_e32 vcc_lo, 32, v10
	v_cndmask_b32_e32 v10, v13, v10, vcc_lo
	s_delay_alu instid0(VALU_DEP_3) | instskip(SKIP_1) | instid1(VALU_DEP_1)
	v_cmp_gt_i32_e32 vcc_lo, 32, v11
	v_cndmask_b32_e32 v11, v13, v11, vcc_lo
	v_lshlrev_b32_e32 v11, 2, v11
	s_delay_alu instid0(VALU_DEP_4) | instskip(SKIP_4) | instid1(VALU_DEP_1)
	v_lshlrev_b32_e32 v10, 2, v10
	ds_bpermute_b32 v12, v10, v9
	s_waitcnt lgkmcnt(0)
	v_add_f32_e32 v12, v9, v12
	v_xor_b32_e32 v9, 4, v13
	v_cmp_gt_i32_e32 vcc_lo, 32, v9
	v_cndmask_b32_e32 v9, v13, v9, vcc_lo
	s_delay_alu instid0(VALU_DEP_1)
	v_lshlrev_b32_e32 v9, 2, v9
	ds_bpermute_b32 v14, v11, v12
	s_waitcnt lgkmcnt(0)
	v_add_f32_e32 v14, v12, v14
	v_xor_b32_e32 v12, 2, v13
	ds_bpermute_b32 v15, v9, v14
	v_cmp_gt_i32_e32 vcc_lo, 32, v12
	s_waitcnt lgkmcnt(0)
	v_dual_cndmask_b32 v12, v13, v12 :: v_dual_add_f32 v15, v14, v15
	v_xor_b32_e32 v14, 1, v13
	s_delay_alu instid0(VALU_DEP_1) | instskip(NEXT) | instid1(VALU_DEP_3)
	v_cmp_gt_i32_e32 vcc_lo, 32, v14
	v_dual_cndmask_b32 v13, v13, v14 :: v_dual_lshlrev_b32 v12, 2, v12
	ds_bpermute_b32 v16, v12, v15
	v_lshlrev_b32_e32 v14, 2, v13
	v_and_b32_e32 v13, 31, v0
	s_delay_alu instid0(VALU_DEP_1)
	v_cmp_eq_u32_e32 vcc_lo, 0, v13
	v_lshlrev_b32_e32 v13, 2, v17
	s_waitcnt lgkmcnt(0)
	v_add_f32_e32 v15, v15, v16
	ds_bpermute_b32 v16, v14, v15
	s_and_saveexec_b32 s2, vcc_lo
	s_cbranch_execz .LBB8_4
; %bb.3:
	s_waitcnt lgkmcnt(0)
	v_add_f32_e32 v15, v15, v16
	ds_store_b32 v13, v15
.LBB8_4:
	s_or_b32 exec_lo, exec_lo, s2
	ds_bpermute_b32 v15, v10, v8
	s_waitcnt lgkmcnt(0)
	v_add_f32_e32 v8, v8, v15
	ds_bpermute_b32 v15, v11, v8
	s_waitcnt lgkmcnt(0)
	v_add_f32_e32 v8, v8, v15
	ds_bpermute_b32 v15, v9, v8
	s_waitcnt lgkmcnt(0)
	v_add_f32_e32 v8, v8, v15
	ds_bpermute_b32 v15, v12, v8
	s_waitcnt lgkmcnt(0)
	v_add_f32_e32 v8, v8, v15
	ds_bpermute_b32 v15, v14, v8
	s_and_saveexec_b32 s2, vcc_lo
	s_cbranch_execz .LBB8_6
; %bb.5:
	s_waitcnt lgkmcnt(0)
	v_add_f32_e32 v8, v8, v15
	ds_store_b32 v13, v8 offset:16
.LBB8_6:
	s_or_b32 exec_lo, exec_lo, s2
	ds_bpermute_b32 v8, v10, v7
	s_waitcnt lgkmcnt(0)
	v_add_f32_e32 v7, v7, v8
	ds_bpermute_b32 v8, v11, v7
	s_waitcnt lgkmcnt(0)
	v_add_f32_e32 v7, v7, v8
	ds_bpermute_b32 v8, v9, v7
	s_waitcnt lgkmcnt(0)
	v_add_f32_e32 v7, v7, v8
	ds_bpermute_b32 v8, v12, v7
	s_waitcnt lgkmcnt(0)
	v_add_f32_e32 v7, v7, v8
	ds_bpermute_b32 v8, v14, v7
	s_and_saveexec_b32 s2, vcc_lo
	s_cbranch_execz .LBB8_8
; %bb.7:
	s_waitcnt lgkmcnt(0)
	v_add_f32_e32 v7, v7, v8
	ds_store_b32 v13, v7 offset:32
.LBB8_8:
	;; [unrolled: 21-line block ×8, first 2 shown]
	s_or_b32 exec_lo, exec_lo, s2
	s_waitcnt lgkmcnt(0)
	s_barrier
	buffer_gl0_inv
	s_mov_b32 s2, exec_lo
	v_cmpx_eq_u32_e32 0, v0
	s_cbranch_execz .LBB8_22
; %bb.21:
	v_mov_b32_e32 v36, 0
	s_ashr_i32 s5, s4, 31
	ds_load_b128 v[0:3], v36
	ds_load_b128 v[4:7], v36 offset:16
	ds_load_b128 v[8:11], v36 offset:32
	;; [unrolled: 1-line block ×8, first 2 shown]
	s_lshl_b64 s[2:3], s[4:5], 2
	s_delay_alu instid0(SALU_CYCLE_1)
	s_add_u32 s0, s0, s2
	s_addc_u32 s1, s1, s3
	s_waitcnt lgkmcnt(5)
	v_add_f32_e32 v12, 0, v12
	v_add_f32_e32 v0, 0, v0
	s_waitcnt lgkmcnt(3)
	v_add_f32_e32 v20, 0, v20
	v_add_f32_e32 v4, 0, v4
	;; [unrolled: 3-line block ×3, first 2 shown]
	v_add_f32_e32 v0, v0, v1
	v_dual_add_f32 v16, 0, v16 :: v_dual_add_f32 v1, v4, v5
	s_delay_alu instid0(VALU_DEP_2) | instskip(NEXT) | instid1(VALU_DEP_2)
	v_add_f32_e32 v0, v0, v2
	v_add_f32_e32 v1, v1, v6
	;; [unrolled: 1-line block ×5, first 2 shown]
	s_waitcnt lgkmcnt(0)
	v_dual_add_f32 v32, 0, v32 :: v_dual_add_f32 v1, v1, v7
	v_add_f32_e32 v9, v20, v21
	v_dual_add_f32 v7, v13, v30 :: v_dual_add_f32 v8, v16, v17
	v_add_f32_e32 v2, v4, v10
	v_add_f32_e32 v4, v5, v14
	;; [unrolled: 1-line block ×11, first 2 shown]
	v_mov_b32_e32 v10, 0x2000
	v_add_f32_e32 v6, v12, v26
	v_add_f32_e32 v4, v5, v19
	;; [unrolled: 1-line block ×3, first 2 shown]
	v_dual_mov_b32 v9, 0x1000 :: v_dual_add_f32 v8, v8, v35
	s_delay_alu instid0(VALU_DEP_4) | instskip(NEXT) | instid1(VALU_DEP_3)
	v_add_f32_e32 v6, v6, v27
	v_add_f32_e32 v5, v5, v23
	s_clause 0x8
	global_store_b32 v36, v0, s[0:1]
	global_store_b32 v36, v1, s[0:1] offset:1024
	global_store_b32 v36, v2, s[0:1] offset:2048
	;; [unrolled: 1-line block ×3, first 2 shown]
	global_store_b32 v9, v4, s[0:1]
	global_store_b32 v9, v5, s[0:1] offset:1024
	global_store_b32 v9, v6, s[0:1] offset:2048
	;; [unrolled: 1-line block ×3, first 2 shown]
	global_store_b32 v10, v8, s[0:1]
.LBB8_22:
	s_nop 0
	s_sendmsg sendmsg(MSG_DEALLOC_VGPRS)
	s_endpgm
	.section	.rodata,"a",@progbits
	.p2align	6, 0x0
	.amdhsa_kernel _Z23fp32_router_gemm_kernelIfLi128ELi9ELi256ELi3072EEvPfPKT_PKf
		.amdhsa_group_segment_fixed_size 144
		.amdhsa_private_segment_fixed_size 0
		.amdhsa_kernarg_size 24
		.amdhsa_user_sgpr_count 15
		.amdhsa_user_sgpr_dispatch_ptr 0
		.amdhsa_user_sgpr_queue_ptr 0
		.amdhsa_user_sgpr_kernarg_segment_ptr 1
		.amdhsa_user_sgpr_dispatch_id 0
		.amdhsa_user_sgpr_private_segment_size 0
		.amdhsa_wavefront_size32 1
		.amdhsa_uses_dynamic_stack 0
		.amdhsa_enable_private_segment 0
		.amdhsa_system_sgpr_workgroup_id_x 1
		.amdhsa_system_sgpr_workgroup_id_y 0
		.amdhsa_system_sgpr_workgroup_id_z 0
		.amdhsa_system_sgpr_workgroup_info 0
		.amdhsa_system_vgpr_workitem_id 0
		.amdhsa_next_free_vgpr 56
		.amdhsa_next_free_sgpr 16
		.amdhsa_reserve_vcc 1
		.amdhsa_float_round_mode_32 0
		.amdhsa_float_round_mode_16_64 0
		.amdhsa_float_denorm_mode_32 3
		.amdhsa_float_denorm_mode_16_64 3
		.amdhsa_dx10_clamp 1
		.amdhsa_ieee_mode 1
		.amdhsa_fp16_overflow 0
		.amdhsa_workgroup_processor_mode 1
		.amdhsa_memory_ordered 1
		.amdhsa_forward_progress 0
		.amdhsa_shared_vgpr_count 0
		.amdhsa_exception_fp_ieee_invalid_op 0
		.amdhsa_exception_fp_denorm_src 0
		.amdhsa_exception_fp_ieee_div_zero 0
		.amdhsa_exception_fp_ieee_overflow 0
		.amdhsa_exception_fp_ieee_underflow 0
		.amdhsa_exception_fp_ieee_inexact 0
		.amdhsa_exception_int_div_zero 0
	.end_amdhsa_kernel
	.section	.text._Z23fp32_router_gemm_kernelIfLi128ELi9ELi256ELi3072EEvPfPKT_PKf,"axG",@progbits,_Z23fp32_router_gemm_kernelIfLi128ELi9ELi256ELi3072EEvPfPKT_PKf,comdat
.Lfunc_end8:
	.size	_Z23fp32_router_gemm_kernelIfLi128ELi9ELi256ELi3072EEvPfPKT_PKf, .Lfunc_end8-_Z23fp32_router_gemm_kernelIfLi128ELi9ELi256ELi3072EEvPfPKT_PKf
                                        ; -- End function
	.section	.AMDGPU.csdata,"",@progbits
; Kernel info:
; codeLenInByte = 2064
; NumSgprs: 18
; NumVgprs: 56
; ScratchSize: 0
; MemoryBound: 0
; FloatMode: 240
; IeeeMode: 1
; LDSByteSize: 144 bytes/workgroup (compile time only)
; SGPRBlocks: 2
; VGPRBlocks: 6
; NumSGPRsForWavesPerEU: 18
; NumVGPRsForWavesPerEU: 56
; Occupancy: 16
; WaveLimiterHint : 1
; COMPUTE_PGM_RSRC2:SCRATCH_EN: 0
; COMPUTE_PGM_RSRC2:USER_SGPR: 15
; COMPUTE_PGM_RSRC2:TRAP_HANDLER: 0
; COMPUTE_PGM_RSRC2:TGID_X_EN: 1
; COMPUTE_PGM_RSRC2:TGID_Y_EN: 0
; COMPUTE_PGM_RSRC2:TGID_Z_EN: 0
; COMPUTE_PGM_RSRC2:TIDIG_COMP_CNT: 0
	.section	.text._Z23fp32_router_gemm_kernelIfLi128ELi10ELi256ELi3072EEvPfPKT_PKf,"axG",@progbits,_Z23fp32_router_gemm_kernelIfLi128ELi10ELi256ELi3072EEvPfPKT_PKf,comdat
	.protected	_Z23fp32_router_gemm_kernelIfLi128ELi10ELi256ELi3072EEvPfPKT_PKf ; -- Begin function _Z23fp32_router_gemm_kernelIfLi128ELi10ELi256ELi3072EEvPfPKT_PKf
	.globl	_Z23fp32_router_gemm_kernelIfLi128ELi10ELi256ELi3072EEvPfPKT_PKf
	.p2align	8
	.type	_Z23fp32_router_gemm_kernelIfLi128ELi10ELi256ELi3072EEvPfPKT_PKf,@function
_Z23fp32_router_gemm_kernelIfLi128ELi10ELi256ELi3072EEvPfPKT_PKf: ; @_Z23fp32_router_gemm_kernelIfLi128ELi10ELi256ELi3072EEvPfPKT_PKf
; %bb.0:
	s_clause 0x1
	s_load_b64 s[6:7], s[0:1], 0x10
	s_load_b128 s[0:3], s[0:1], 0x0
	v_dual_mov_b32 v10, 0 :: v_dual_lshlrev_b32 v11, 2, v0
	s_mul_i32 s8, s15, 0xc00
	v_dual_mov_b32 v9, 0 :: v_dual_mov_b32 v8, 0
	s_ashr_i32 s9, s8, 31
	s_delay_alu instid0(VALU_DEP_2)
	v_or_b32_e32 v12, 0x200, v11
	v_or_b32_e32 v13, 0x400, v11
	;; [unrolled: 1-line block ×5, first 2 shown]
	s_lshl_b64 s[8:9], s[8:9], 2
	v_dual_mov_b32 v7, 0 :: v_dual_mov_b32 v6, 0
	v_dual_mov_b32 v5, 0 :: v_dual_mov_b32 v4, 0
	;; [unrolled: 1-line block ×3, first 2 shown]
	v_mov_b32_e32 v1, 0
	s_waitcnt lgkmcnt(0)
	s_add_u32 s6, s6, s8
	s_mov_b32 s4, s15
	s_addc_u32 s7, s7, s9
	s_mov_b64 s[8:9], 0
.LBB9_1:                                ; =>This Inner Loop Header: Depth=1
	s_delay_alu instid0(SALU_CYCLE_1)
	s_cmp_eq_u32 s8, 1
	s_cselect_b32 vcc_lo, -1, 0
	s_cmp_eq_u32 s8, 2
	v_cndmask_b32_e32 v17, v11, v12, vcc_lo
	s_cselect_b32 vcc_lo, -1, 0
	s_cmp_eq_u32 s8, 3
	s_delay_alu instid0(VALU_DEP_1) | instskip(SKIP_2) | instid1(VALU_DEP_1)
	v_cndmask_b32_e32 v17, v17, v13, vcc_lo
	s_cselect_b32 vcc_lo, -1, 0
	s_cmp_eq_u32 s8, 4
	v_cndmask_b32_e32 v17, v17, v14, vcc_lo
	s_cselect_b32 vcc_lo, -1, 0
	s_cmp_eq_u32 s8, 5
	s_delay_alu instid0(VALU_DEP_1)
	v_cndmask_b32_e32 v17, v17, v15, vcc_lo
	s_cselect_b32 vcc_lo, -1, 0
	s_add_u32 s8, s8, 1
	s_addc_u32 s9, s9, 0
	s_cmp_eq_u32 s8, 6
	v_cndmask_b32_e32 v17, v17, v16, vcc_lo
	s_delay_alu instid0(VALU_DEP_1) | instskip(NEXT) | instid1(VALU_DEP_1)
	v_lshlrev_b32_e32 v21, 2, v17
	v_add_co_u32 v27, s5, s2, v21
	s_delay_alu instid0(VALU_DEP_1)
	v_add_co_ci_u32_e64 v28, null, s3, 0, s5
	s_clause 0x1
	global_load_b128 v[17:20], v21, s[6:7]
	global_load_b128 v[21:24], v21, s[2:3]
	v_add_co_u32 v25, vcc_lo, 0x3000, v27
	v_add_co_ci_u32_e32 v26, vcc_lo, 0, v28, vcc_lo
	v_add_co_u32 v29, vcc_lo, 0x6000, v27
	v_add_co_ci_u32_e32 v30, vcc_lo, 0, v28, vcc_lo
	;; [unrolled: 2-line block ×9, first 2 shown]
	s_clause 0x8
	global_load_b128 v[25:28], v[25:26], off
	global_load_b128 v[29:32], v[29:30], off
	;; [unrolled: 1-line block ×9, first 2 shown]
	s_waitcnt vmcnt(6)
	v_fmac_f32_e32 v7, v33, v17
	v_fmac_f32_e32 v8, v29, v17
	s_waitcnt vmcnt(4)
	v_fmac_f32_e32 v5, v41, v17
	v_fmac_f32_e32 v6, v37, v17
	s_waitcnt vmcnt(2)
	v_fmac_f32_e32 v3, v49, v17
	v_fmac_f32_e32 v4, v45, v17
	s_waitcnt vmcnt(0)
	v_fmac_f32_e32 v1, v57, v17
	v_dual_fmac_f32 v2, v53, v17 :: v_dual_fmac_f32 v7, v34, v18
	v_fmac_f32_e32 v8, v30, v18
	v_fmac_f32_e32 v5, v42, v18
	s_delay_alu instid0(VALU_DEP_4) | instskip(NEXT) | instid1(VALU_DEP_4)
	v_fmac_f32_e32 v1, v58, v18
	v_dual_fmac_f32 v9, v25, v17 :: v_dual_fmac_f32 v2, v54, v18
	v_fmac_f32_e32 v10, v21, v17
	v_fmac_f32_e32 v6, v38, v18
	;; [unrolled: 1-line block ×3, first 2 shown]
	s_delay_alu instid0(VALU_DEP_4)
	v_fmac_f32_e32 v9, v26, v18
	v_fmac_f32_e32 v4, v46, v18
	;; [unrolled: 1-line block ×9, first 2 shown]
	v_dual_fmac_f32 v6, v40, v20 :: v_dual_fmac_f32 v5, v43, v19
	v_fmac_f32_e32 v2, v55, v19
	v_fmac_f32_e32 v3, v51, v19
	v_dual_fmac_f32 v1, v59, v19 :: v_dual_fmac_f32 v10, v24, v20
	v_fmac_f32_e32 v8, v32, v20
	s_delay_alu instid0(VALU_DEP_4)
	v_fmac_f32_e32 v2, v56, v20
	v_fmac_f32_e32 v9, v28, v20
	;; [unrolled: 1-line block ×7, first 2 shown]
	s_cbranch_scc0 .LBB9_1
; %bb.2:
	v_mbcnt_lo_u32_b32 v14, -1, 0
	v_lshrrev_b32_e32 v18, 5, v0
	s_delay_alu instid0(VALU_DEP_2) | instskip(SKIP_1) | instid1(VALU_DEP_2)
	v_xor_b32_e32 v11, 16, v14
	v_xor_b32_e32 v12, 8, v14
	v_cmp_gt_i32_e32 vcc_lo, 32, v11
	v_cndmask_b32_e32 v11, v14, v11, vcc_lo
	s_delay_alu instid0(VALU_DEP_3) | instskip(SKIP_1) | instid1(VALU_DEP_1)
	v_cmp_gt_i32_e32 vcc_lo, 32, v12
	v_cndmask_b32_e32 v12, v14, v12, vcc_lo
	v_lshlrev_b32_e32 v12, 2, v12
	s_delay_alu instid0(VALU_DEP_4) | instskip(SKIP_4) | instid1(VALU_DEP_1)
	v_lshlrev_b32_e32 v11, 2, v11
	ds_bpermute_b32 v13, v11, v10
	s_waitcnt lgkmcnt(0)
	v_add_f32_e32 v13, v10, v13
	v_xor_b32_e32 v10, 4, v14
	v_cmp_gt_i32_e32 vcc_lo, 32, v10
	v_cndmask_b32_e32 v10, v14, v10, vcc_lo
	s_delay_alu instid0(VALU_DEP_1)
	v_lshlrev_b32_e32 v10, 2, v10
	ds_bpermute_b32 v15, v12, v13
	s_waitcnt lgkmcnt(0)
	v_add_f32_e32 v15, v13, v15
	v_xor_b32_e32 v13, 2, v14
	ds_bpermute_b32 v16, v10, v15
	v_cmp_gt_i32_e32 vcc_lo, 32, v13
	s_waitcnt lgkmcnt(0)
	v_dual_cndmask_b32 v13, v14, v13 :: v_dual_add_f32 v16, v15, v16
	v_xor_b32_e32 v15, 1, v14
	s_delay_alu instid0(VALU_DEP_1) | instskip(NEXT) | instid1(VALU_DEP_3)
	v_cmp_gt_i32_e32 vcc_lo, 32, v15
	v_dual_cndmask_b32 v14, v14, v15 :: v_dual_lshlrev_b32 v13, 2, v13
	ds_bpermute_b32 v17, v13, v16
	v_lshlrev_b32_e32 v15, 2, v14
	v_and_b32_e32 v14, 31, v0
	s_delay_alu instid0(VALU_DEP_1)
	v_cmp_eq_u32_e32 vcc_lo, 0, v14
	v_lshlrev_b32_e32 v14, 2, v18
	s_waitcnt lgkmcnt(0)
	v_add_f32_e32 v16, v16, v17
	ds_bpermute_b32 v17, v15, v16
	s_and_saveexec_b32 s2, vcc_lo
	s_cbranch_execz .LBB9_4
; %bb.3:
	s_waitcnt lgkmcnt(0)
	v_add_f32_e32 v16, v16, v17
	ds_store_b32 v14, v16
.LBB9_4:
	s_or_b32 exec_lo, exec_lo, s2
	ds_bpermute_b32 v16, v11, v9
	s_waitcnt lgkmcnt(0)
	v_add_f32_e32 v9, v9, v16
	ds_bpermute_b32 v16, v12, v9
	s_waitcnt lgkmcnt(0)
	v_add_f32_e32 v9, v9, v16
	ds_bpermute_b32 v16, v10, v9
	s_waitcnt lgkmcnt(0)
	v_add_f32_e32 v9, v9, v16
	ds_bpermute_b32 v16, v13, v9
	s_waitcnt lgkmcnt(0)
	v_add_f32_e32 v9, v9, v16
	ds_bpermute_b32 v16, v15, v9
	s_and_saveexec_b32 s2, vcc_lo
	s_cbranch_execz .LBB9_6
; %bb.5:
	s_waitcnt lgkmcnt(0)
	v_add_f32_e32 v9, v9, v16
	ds_store_b32 v14, v9 offset:16
.LBB9_6:
	s_or_b32 exec_lo, exec_lo, s2
	ds_bpermute_b32 v9, v11, v8
	s_waitcnt lgkmcnt(0)
	v_add_f32_e32 v8, v8, v9
	ds_bpermute_b32 v9, v12, v8
	s_waitcnt lgkmcnt(0)
	v_add_f32_e32 v8, v8, v9
	ds_bpermute_b32 v9, v10, v8
	s_waitcnt lgkmcnt(0)
	v_add_f32_e32 v8, v8, v9
	ds_bpermute_b32 v9, v13, v8
	s_waitcnt lgkmcnt(0)
	v_add_f32_e32 v8, v8, v9
	ds_bpermute_b32 v9, v15, v8
	s_and_saveexec_b32 s2, vcc_lo
	s_cbranch_execz .LBB9_8
; %bb.7:
	s_waitcnt lgkmcnt(0)
	v_add_f32_e32 v8, v8, v9
	ds_store_b32 v14, v8 offset:32
.LBB9_8:
	;; [unrolled: 21-line block ×9, first 2 shown]
	s_or_b32 exec_lo, exec_lo, s2
	s_waitcnt lgkmcnt(0)
	s_barrier
	buffer_gl0_inv
	s_mov_b32 s2, exec_lo
	v_cmpx_eq_u32_e32 0, v0
	s_cbranch_execz .LBB9_24
; %bb.23:
	v_dual_mov_b32 v40, 0 :: v_dual_mov_b32 v41, 0x1000
	s_ashr_i32 s5, s4, 31
	ds_load_b128 v[0:3], v40
	ds_load_b128 v[4:7], v40 offset:16
	ds_load_b128 v[8:11], v40 offset:32
	;; [unrolled: 1-line block ×9, first 2 shown]
	s_lshl_b64 s[2:3], s[4:5], 2
	s_delay_alu instid0(SALU_CYCLE_1)
	s_add_u32 s0, s0, s2
	s_addc_u32 s1, s1, s3
	s_waitcnt lgkmcnt(6)
	v_add_f32_e32 v12, 0, v12
	v_add_f32_e32 v4, 0, v4
	;; [unrolled: 1-line block ×3, first 2 shown]
	s_waitcnt lgkmcnt(5)
	v_add_f32_e32 v16, 0, v16
	s_delay_alu instid0(VALU_DEP_2) | instskip(SKIP_1) | instid1(VALU_DEP_2)
	v_add_f32_e32 v0, v0, v1
	v_add_f32_e32 v1, v4, v5
	;; [unrolled: 1-line block ×3, first 2 shown]
	s_waitcnt lgkmcnt(4)
	s_delay_alu instid0(VALU_DEP_2) | instskip(SKIP_1) | instid1(VALU_DEP_3)
	v_dual_add_f32 v1, v1, v6 :: v_dual_add_f32 v20, 0, v20
	v_add_f32_e32 v5, v12, v13
	v_add_f32_e32 v0, v0, v3
	s_delay_alu instid0(VALU_DEP_3) | instskip(NEXT) | instid1(VALU_DEP_1)
	v_dual_add_f32 v1, v1, v7 :: v_dual_add_f32 v8, 0, v8
	v_add_f32_e32 v4, v8, v9
	s_waitcnt lgkmcnt(2)
	v_dual_add_f32 v9, v20, v21 :: v_dual_add_f32 v28, 0, v28
	s_waitcnt lgkmcnt(1)
	s_delay_alu instid0(VALU_DEP_1) | instskip(NEXT) | instid1(VALU_DEP_2)
	v_dual_add_f32 v9, v9, v22 :: v_dual_add_f32 v32, 0, v32
	v_add_f32_e32 v7, v28, v29
	s_delay_alu instid0(VALU_DEP_2) | instskip(NEXT) | instid1(VALU_DEP_2)
	v_dual_add_f32 v8, v16, v17 :: v_dual_add_f32 v9, v9, v23
	v_add_f32_e32 v7, v7, v30
	v_add_f32_e32 v2, v4, v10
	;; [unrolled: 1-line block ×3, first 2 shown]
	s_delay_alu instid0(VALU_DEP_4) | instskip(NEXT) | instid1(VALU_DEP_4)
	v_dual_add_f32 v5, v8, v18 :: v_dual_add_f32 v24, 0, v24
	v_dual_add_f32 v8, v32, v33 :: v_dual_add_f32 v7, v7, v31
	s_delay_alu instid0(VALU_DEP_3) | instskip(SKIP_1) | instid1(VALU_DEP_3)
	v_add_f32_e32 v3, v4, v15
	s_waitcnt lgkmcnt(0)
	v_dual_add_f32 v4, v5, v19 :: v_dual_add_f32 v5, 0, v36
	s_delay_alu instid0(VALU_DEP_3) | instskip(SKIP_1) | instid1(VALU_DEP_3)
	v_add_f32_e32 v8, v8, v34
	v_add_f32_e32 v2, v2, v11
	v_dual_mov_b32 v10, 0x2000 :: v_dual_add_f32 v5, v5, v37
	s_delay_alu instid0(VALU_DEP_1) | instskip(NEXT) | instid1(VALU_DEP_1)
	v_dual_add_f32 v8, v8, v35 :: v_dual_add_f32 v5, v5, v38
	v_dual_add_f32 v6, v24, v25 :: v_dual_add_f32 v5, v5, v39
	s_delay_alu instid0(VALU_DEP_1) | instskip(NEXT) | instid1(VALU_DEP_1)
	v_add_f32_e32 v6, v6, v26
	v_add_f32_e32 v6, v6, v27
	s_clause 0x9
	global_store_b32 v40, v0, s[0:1]
	global_store_b32 v40, v1, s[0:1] offset:1024
	global_store_b32 v40, v2, s[0:1] offset:2048
	;; [unrolled: 1-line block ×3, first 2 shown]
	global_store_b32 v41, v4, s[0:1]
	global_store_b32 v41, v9, s[0:1] offset:1024
	global_store_b32 v41, v6, s[0:1] offset:2048
	;; [unrolled: 1-line block ×3, first 2 shown]
	global_store_b32 v10, v8, s[0:1]
	global_store_b32 v10, v5, s[0:1] offset:1024
.LBB9_24:
	s_nop 0
	s_sendmsg sendmsg(MSG_DEALLOC_VGPRS)
	s_endpgm
	.section	.rodata,"a",@progbits
	.p2align	6, 0x0
	.amdhsa_kernel _Z23fp32_router_gemm_kernelIfLi128ELi10ELi256ELi3072EEvPfPKT_PKf
		.amdhsa_group_segment_fixed_size 160
		.amdhsa_private_segment_fixed_size 0
		.amdhsa_kernarg_size 24
		.amdhsa_user_sgpr_count 15
		.amdhsa_user_sgpr_dispatch_ptr 0
		.amdhsa_user_sgpr_queue_ptr 0
		.amdhsa_user_sgpr_kernarg_segment_ptr 1
		.amdhsa_user_sgpr_dispatch_id 0
		.amdhsa_user_sgpr_private_segment_size 0
		.amdhsa_wavefront_size32 1
		.amdhsa_uses_dynamic_stack 0
		.amdhsa_enable_private_segment 0
		.amdhsa_system_sgpr_workgroup_id_x 1
		.amdhsa_system_sgpr_workgroup_id_y 0
		.amdhsa_system_sgpr_workgroup_id_z 0
		.amdhsa_system_sgpr_workgroup_info 0
		.amdhsa_system_vgpr_workitem_id 0
		.amdhsa_next_free_vgpr 61
		.amdhsa_next_free_sgpr 16
		.amdhsa_reserve_vcc 1
		.amdhsa_float_round_mode_32 0
		.amdhsa_float_round_mode_16_64 0
		.amdhsa_float_denorm_mode_32 3
		.amdhsa_float_denorm_mode_16_64 3
		.amdhsa_dx10_clamp 1
		.amdhsa_ieee_mode 1
		.amdhsa_fp16_overflow 0
		.amdhsa_workgroup_processor_mode 1
		.amdhsa_memory_ordered 1
		.amdhsa_forward_progress 0
		.amdhsa_shared_vgpr_count 0
		.amdhsa_exception_fp_ieee_invalid_op 0
		.amdhsa_exception_fp_denorm_src 0
		.amdhsa_exception_fp_ieee_div_zero 0
		.amdhsa_exception_fp_ieee_overflow 0
		.amdhsa_exception_fp_ieee_underflow 0
		.amdhsa_exception_fp_ieee_inexact 0
		.amdhsa_exception_int_div_zero 0
	.end_amdhsa_kernel
	.section	.text._Z23fp32_router_gemm_kernelIfLi128ELi10ELi256ELi3072EEvPfPKT_PKf,"axG",@progbits,_Z23fp32_router_gemm_kernelIfLi128ELi10ELi256ELi3072EEvPfPKT_PKf,comdat
.Lfunc_end9:
	.size	_Z23fp32_router_gemm_kernelIfLi128ELi10ELi256ELi3072EEvPfPKT_PKf, .Lfunc_end9-_Z23fp32_router_gemm_kernelIfLi128ELi10ELi256ELi3072EEvPfPKT_PKf
                                        ; -- End function
	.section	.AMDGPU.csdata,"",@progbits
; Kernel info:
; codeLenInByte = 2284
; NumSgprs: 18
; NumVgprs: 61
; ScratchSize: 0
; MemoryBound: 0
; FloatMode: 240
; IeeeMode: 1
; LDSByteSize: 160 bytes/workgroup (compile time only)
; SGPRBlocks: 2
; VGPRBlocks: 7
; NumSGPRsForWavesPerEU: 18
; NumVGPRsForWavesPerEU: 61
; Occupancy: 16
; WaveLimiterHint : 1
; COMPUTE_PGM_RSRC2:SCRATCH_EN: 0
; COMPUTE_PGM_RSRC2:USER_SGPR: 15
; COMPUTE_PGM_RSRC2:TRAP_HANDLER: 0
; COMPUTE_PGM_RSRC2:TGID_X_EN: 1
; COMPUTE_PGM_RSRC2:TGID_Y_EN: 0
; COMPUTE_PGM_RSRC2:TGID_Z_EN: 0
; COMPUTE_PGM_RSRC2:TIDIG_COMP_CNT: 0
	.section	.text._Z23fp32_router_gemm_kernelIfLi128ELi11ELi256ELi3072EEvPfPKT_PKf,"axG",@progbits,_Z23fp32_router_gemm_kernelIfLi128ELi11ELi256ELi3072EEvPfPKT_PKf,comdat
	.protected	_Z23fp32_router_gemm_kernelIfLi128ELi11ELi256ELi3072EEvPfPKT_PKf ; -- Begin function _Z23fp32_router_gemm_kernelIfLi128ELi11ELi256ELi3072EEvPfPKT_PKf
	.globl	_Z23fp32_router_gemm_kernelIfLi128ELi11ELi256ELi3072EEvPfPKT_PKf
	.p2align	8
	.type	_Z23fp32_router_gemm_kernelIfLi128ELi11ELi256ELi3072EEvPfPKT_PKf,@function
_Z23fp32_router_gemm_kernelIfLi128ELi11ELi256ELi3072EEvPfPKT_PKf: ; @_Z23fp32_router_gemm_kernelIfLi128ELi11ELi256ELi3072EEvPfPKT_PKf
; %bb.0:
	s_clause 0x1
	s_load_b64 s[6:7], s[0:1], 0x10
	s_load_b128 s[0:3], s[0:1], 0x0
	v_dual_mov_b32 v11, 0 :: v_dual_lshlrev_b32 v12, 2, v0
	s_mul_i32 s8, s15, 0xc00
	v_dual_mov_b32 v10, 0 :: v_dual_mov_b32 v9, 0
	s_ashr_i32 s9, s8, 31
	s_delay_alu instid0(VALU_DEP_2)
	v_or_b32_e32 v13, 0x200, v12
	v_or_b32_e32 v14, 0x400, v12
	v_or_b32_e32 v15, 0x600, v12
	v_or_b32_e32 v16, 0x800, v12
	v_or_b32_e32 v17, 0xa00, v12
	s_lshl_b64 s[8:9], s[8:9], 2
	v_dual_mov_b32 v8, 0 :: v_dual_mov_b32 v7, 0
	v_dual_mov_b32 v6, 0 :: v_dual_mov_b32 v5, 0
	;; [unrolled: 1-line block ×4, first 2 shown]
	s_waitcnt lgkmcnt(0)
	s_add_u32 s6, s6, s8
	s_mov_b32 s4, s15
	s_addc_u32 s7, s7, s9
	s_mov_b64 s[8:9], 0
.LBB10_1:                               ; =>This Inner Loop Header: Depth=1
	s_delay_alu instid0(SALU_CYCLE_1)
	s_cmp_eq_u32 s8, 1
	s_cselect_b32 vcc_lo, -1, 0
	s_cmp_eq_u32 s8, 2
	v_cndmask_b32_e32 v18, v12, v13, vcc_lo
	s_cselect_b32 vcc_lo, -1, 0
	s_cmp_eq_u32 s8, 3
	s_delay_alu instid0(VALU_DEP_1) | instskip(SKIP_2) | instid1(VALU_DEP_1)
	v_cndmask_b32_e32 v18, v18, v14, vcc_lo
	s_cselect_b32 vcc_lo, -1, 0
	s_cmp_eq_u32 s8, 4
	v_cndmask_b32_e32 v18, v18, v15, vcc_lo
	s_cselect_b32 vcc_lo, -1, 0
	s_cmp_eq_u32 s8, 5
	s_delay_alu instid0(VALU_DEP_1)
	v_cndmask_b32_e32 v18, v18, v16, vcc_lo
	s_cselect_b32 vcc_lo, -1, 0
	s_add_u32 s8, s8, 1
	s_addc_u32 s9, s9, 0
	s_cmp_eq_u32 s8, 6
	v_cndmask_b32_e32 v18, v18, v17, vcc_lo
	s_delay_alu instid0(VALU_DEP_1) | instskip(NEXT) | instid1(VALU_DEP_1)
	v_lshlrev_b32_e32 v22, 2, v18
	v_add_co_u32 v28, s5, s2, v22
	s_delay_alu instid0(VALU_DEP_1)
	v_add_co_ci_u32_e64 v29, null, s3, 0, s5
	s_clause 0x1
	global_load_b128 v[18:21], v22, s[6:7]
	global_load_b128 v[22:25], v22, s[2:3]
	v_add_co_u32 v26, vcc_lo, 0x3000, v28
	v_add_co_ci_u32_e32 v27, vcc_lo, 0, v29, vcc_lo
	v_add_co_u32 v30, vcc_lo, 0x6000, v28
	v_add_co_ci_u32_e32 v31, vcc_lo, 0, v29, vcc_lo
	;; [unrolled: 2-line block ×10, first 2 shown]
	s_clause 0x9
	global_load_b128 v[26:29], v[26:27], off
	global_load_b128 v[30:33], v[30:31], off
	;; [unrolled: 1-line block ×10, first 2 shown]
	s_waitcnt vmcnt(0)
	v_fmac_f32_e32 v1, v62, v18
	s_delay_alu instid0(VALU_DEP_1) | instskip(NEXT) | instid1(VALU_DEP_1)
	v_dual_fmac_f32 v8, v34, v18 :: v_dual_fmac_f32 v1, v63, v19
	v_dual_fmac_f32 v9, v30, v18 :: v_dual_fmac_f32 v8, v35, v19
	s_delay_alu instid0(VALU_DEP_1) | instskip(NEXT) | instid1(VALU_DEP_1)
	v_dual_fmac_f32 v9, v31, v19 :: v_dual_fmac_f32 v6, v42, v18
	v_fmac_f32_e32 v9, v32, v20
	s_delay_alu instid0(VALU_DEP_2) | instskip(NEXT) | instid1(VALU_DEP_2)
	v_dual_fmac_f32 v7, v38, v18 :: v_dual_fmac_f32 v6, v43, v19
	v_dual_fmac_f32 v8, v36, v20 :: v_dual_fmac_f32 v9, v33, v21
	s_delay_alu instid0(VALU_DEP_2) | instskip(NEXT) | instid1(VALU_DEP_2)
	v_dual_fmac_f32 v7, v39, v19 :: v_dual_fmac_f32 v4, v50, v18
	v_dual_fmac_f32 v1, v64, v20 :: v_dual_fmac_f32 v8, v37, v21
	s_delay_alu instid0(VALU_DEP_2) | instskip(NEXT) | instid1(VALU_DEP_3)
	v_fmac_f32_e32 v7, v40, v20
	v_dual_fmac_f32 v5, v46, v18 :: v_dual_fmac_f32 v4, v51, v19
	s_delay_alu instid0(VALU_DEP_3) | instskip(NEXT) | instid1(VALU_DEP_3)
	v_dual_fmac_f32 v6, v44, v20 :: v_dual_fmac_f32 v1, v65, v21
	v_fmac_f32_e32 v7, v41, v21
	s_delay_alu instid0(VALU_DEP_3) | instskip(NEXT) | instid1(VALU_DEP_1)
	v_dual_fmac_f32 v5, v47, v19 :: v_dual_fmac_f32 v2, v58, v18
	v_dual_fmac_f32 v6, v45, v21 :: v_dual_fmac_f32 v5, v48, v20
	s_delay_alu instid0(VALU_DEP_2) | instskip(SKIP_1) | instid1(VALU_DEP_3)
	v_dual_fmac_f32 v3, v54, v18 :: v_dual_fmac_f32 v2, v59, v19
	v_fmac_f32_e32 v10, v26, v18
	v_dual_fmac_f32 v4, v52, v20 :: v_dual_fmac_f32 v5, v49, v21
	s_delay_alu instid0(VALU_DEP_3) | instskip(NEXT) | instid1(VALU_DEP_3)
	v_fmac_f32_e32 v3, v55, v19
	v_dual_fmac_f32 v11, v22, v18 :: v_dual_fmac_f32 v10, v27, v19
	s_delay_alu instid0(VALU_DEP_1) | instskip(NEXT) | instid1(VALU_DEP_2)
	v_dual_fmac_f32 v4, v53, v21 :: v_dual_fmac_f32 v11, v23, v19
	v_fmac_f32_e32 v10, v28, v20
	s_delay_alu instid0(VALU_DEP_4) | instskip(NEXT) | instid1(VALU_DEP_2)
	v_fmac_f32_e32 v3, v56, v20
	v_dual_fmac_f32 v11, v24, v20 :: v_dual_fmac_f32 v10, v29, v21
	s_delay_alu instid0(VALU_DEP_2) | instskip(NEXT) | instid1(VALU_DEP_2)
	v_dual_fmac_f32 v2, v60, v20 :: v_dual_fmac_f32 v3, v57, v21
	v_fmac_f32_e32 v11, v25, v21
	s_delay_alu instid0(VALU_DEP_2)
	v_fmac_f32_e32 v2, v61, v21
	s_cbranch_scc0 .LBB10_1
; %bb.2:
	v_mbcnt_lo_u32_b32 v15, -1, 0
	v_lshrrev_b32_e32 v19, 5, v0
	s_delay_alu instid0(VALU_DEP_2) | instskip(SKIP_1) | instid1(VALU_DEP_2)
	v_xor_b32_e32 v12, 16, v15
	v_xor_b32_e32 v13, 8, v15
	v_cmp_gt_i32_e32 vcc_lo, 32, v12
	v_cndmask_b32_e32 v12, v15, v12, vcc_lo
	s_delay_alu instid0(VALU_DEP_3) | instskip(SKIP_1) | instid1(VALU_DEP_1)
	v_cmp_gt_i32_e32 vcc_lo, 32, v13
	v_cndmask_b32_e32 v13, v15, v13, vcc_lo
	v_lshlrev_b32_e32 v13, 2, v13
	s_delay_alu instid0(VALU_DEP_4) | instskip(SKIP_4) | instid1(VALU_DEP_1)
	v_lshlrev_b32_e32 v12, 2, v12
	ds_bpermute_b32 v14, v12, v11
	s_waitcnt lgkmcnt(0)
	v_add_f32_e32 v14, v11, v14
	v_xor_b32_e32 v11, 4, v15
	v_cmp_gt_i32_e32 vcc_lo, 32, v11
	v_cndmask_b32_e32 v11, v15, v11, vcc_lo
	s_delay_alu instid0(VALU_DEP_1)
	v_lshlrev_b32_e32 v11, 2, v11
	ds_bpermute_b32 v16, v13, v14
	s_waitcnt lgkmcnt(0)
	v_add_f32_e32 v16, v14, v16
	v_xor_b32_e32 v14, 2, v15
	ds_bpermute_b32 v17, v11, v16
	v_cmp_gt_i32_e32 vcc_lo, 32, v14
	s_waitcnt lgkmcnt(0)
	v_dual_cndmask_b32 v14, v15, v14 :: v_dual_add_f32 v17, v16, v17
	v_xor_b32_e32 v16, 1, v15
	s_delay_alu instid0(VALU_DEP_1) | instskip(NEXT) | instid1(VALU_DEP_3)
	v_cmp_gt_i32_e32 vcc_lo, 32, v16
	v_dual_cndmask_b32 v15, v15, v16 :: v_dual_lshlrev_b32 v14, 2, v14
	ds_bpermute_b32 v18, v14, v17
	v_lshlrev_b32_e32 v16, 2, v15
	v_and_b32_e32 v15, 31, v0
	s_delay_alu instid0(VALU_DEP_1)
	v_cmp_eq_u32_e32 vcc_lo, 0, v15
	v_lshlrev_b32_e32 v15, 2, v19
	s_waitcnt lgkmcnt(0)
	v_add_f32_e32 v17, v17, v18
	ds_bpermute_b32 v18, v16, v17
	s_and_saveexec_b32 s2, vcc_lo
	s_cbranch_execz .LBB10_4
; %bb.3:
	s_waitcnt lgkmcnt(0)
	v_add_f32_e32 v17, v17, v18
	ds_store_b32 v15, v17
.LBB10_4:
	s_or_b32 exec_lo, exec_lo, s2
	ds_bpermute_b32 v17, v12, v10
	s_waitcnt lgkmcnt(0)
	v_add_f32_e32 v10, v10, v17
	ds_bpermute_b32 v17, v13, v10
	s_waitcnt lgkmcnt(0)
	v_add_f32_e32 v10, v10, v17
	ds_bpermute_b32 v17, v11, v10
	s_waitcnt lgkmcnt(0)
	v_add_f32_e32 v10, v10, v17
	ds_bpermute_b32 v17, v14, v10
	s_waitcnt lgkmcnt(0)
	v_add_f32_e32 v10, v10, v17
	ds_bpermute_b32 v17, v16, v10
	s_and_saveexec_b32 s2, vcc_lo
	s_cbranch_execz .LBB10_6
; %bb.5:
	s_waitcnt lgkmcnt(0)
	v_add_f32_e32 v10, v10, v17
	ds_store_b32 v15, v10 offset:16
.LBB10_6:
	s_or_b32 exec_lo, exec_lo, s2
	ds_bpermute_b32 v10, v12, v9
	s_waitcnt lgkmcnt(0)
	v_add_f32_e32 v9, v9, v10
	ds_bpermute_b32 v10, v13, v9
	s_waitcnt lgkmcnt(0)
	v_add_f32_e32 v9, v9, v10
	ds_bpermute_b32 v10, v11, v9
	s_waitcnt lgkmcnt(0)
	v_add_f32_e32 v9, v9, v10
	ds_bpermute_b32 v10, v14, v9
	s_waitcnt lgkmcnt(0)
	v_add_f32_e32 v9, v9, v10
	ds_bpermute_b32 v10, v16, v9
	s_and_saveexec_b32 s2, vcc_lo
	s_cbranch_execz .LBB10_8
; %bb.7:
	s_waitcnt lgkmcnt(0)
	v_add_f32_e32 v9, v9, v10
	ds_store_b32 v15, v9 offset:32
.LBB10_8:
	s_or_b32 exec_lo, exec_lo, s2
	ds_bpermute_b32 v9, v12, v8
	s_waitcnt lgkmcnt(0)
	v_add_f32_e32 v8, v8, v9
	ds_bpermute_b32 v9, v13, v8
	s_waitcnt lgkmcnt(0)
	v_add_f32_e32 v8, v8, v9
	ds_bpermute_b32 v9, v11, v8
	s_waitcnt lgkmcnt(0)
	v_add_f32_e32 v8, v8, v9
	ds_bpermute_b32 v9, v14, v8
	s_waitcnt lgkmcnt(0)
	v_add_f32_e32 v8, v8, v9
	ds_bpermute_b32 v9, v16, v8
	s_and_saveexec_b32 s2, vcc_lo
	s_cbranch_execz .LBB10_10
; %bb.9:
	s_waitcnt lgkmcnt(0)
	v_add_f32_e32 v8, v8, v9
	ds_store_b32 v15, v8 offset:48
.LBB10_10:
	s_or_b32 exec_lo, exec_lo, s2
	ds_bpermute_b32 v8, v12, v7
	s_waitcnt lgkmcnt(0)
	v_add_f32_e32 v7, v7, v8
	ds_bpermute_b32 v8, v13, v7
	s_waitcnt lgkmcnt(0)
	v_add_f32_e32 v7, v7, v8
	ds_bpermute_b32 v8, v11, v7
	s_waitcnt lgkmcnt(0)
	v_add_f32_e32 v7, v7, v8
	ds_bpermute_b32 v8, v14, v7
	s_waitcnt lgkmcnt(0)
	v_add_f32_e32 v7, v7, v8
	ds_bpermute_b32 v8, v16, v7
	s_and_saveexec_b32 s2, vcc_lo
	s_cbranch_execz .LBB10_12
; %bb.11:
	s_waitcnt lgkmcnt(0)
	v_add_f32_e32 v7, v7, v8
	ds_store_b32 v15, v7 offset:64
.LBB10_12:
	s_or_b32 exec_lo, exec_lo, s2
	ds_bpermute_b32 v7, v12, v6
	s_waitcnt lgkmcnt(0)
	v_add_f32_e32 v6, v6, v7
	ds_bpermute_b32 v7, v13, v6
	s_waitcnt lgkmcnt(0)
	v_add_f32_e32 v6, v6, v7
	ds_bpermute_b32 v7, v11, v6
	s_waitcnt lgkmcnt(0)
	v_add_f32_e32 v6, v6, v7
	ds_bpermute_b32 v7, v14, v6
	s_waitcnt lgkmcnt(0)
	v_add_f32_e32 v6, v6, v7
	ds_bpermute_b32 v7, v16, v6
	s_and_saveexec_b32 s2, vcc_lo
	s_cbranch_execz .LBB10_14
; %bb.13:
	s_waitcnt lgkmcnt(0)
	v_add_f32_e32 v6, v6, v7
	ds_store_b32 v15, v6 offset:80
.LBB10_14:
	s_or_b32 exec_lo, exec_lo, s2
	ds_bpermute_b32 v6, v12, v5
	s_waitcnt lgkmcnt(0)
	v_add_f32_e32 v5, v5, v6
	ds_bpermute_b32 v6, v13, v5
	s_waitcnt lgkmcnt(0)
	v_add_f32_e32 v5, v5, v6
	ds_bpermute_b32 v6, v11, v5
	s_waitcnt lgkmcnt(0)
	v_add_f32_e32 v5, v5, v6
	ds_bpermute_b32 v6, v14, v5
	s_waitcnt lgkmcnt(0)
	v_add_f32_e32 v5, v5, v6
	ds_bpermute_b32 v6, v16, v5
	s_and_saveexec_b32 s2, vcc_lo
	s_cbranch_execz .LBB10_16
; %bb.15:
	s_waitcnt lgkmcnt(0)
	v_add_f32_e32 v5, v5, v6
	ds_store_b32 v15, v5 offset:96
.LBB10_16:
	s_or_b32 exec_lo, exec_lo, s2
	ds_bpermute_b32 v5, v12, v4
	s_waitcnt lgkmcnt(0)
	v_add_f32_e32 v4, v4, v5
	ds_bpermute_b32 v5, v13, v4
	s_waitcnt lgkmcnt(0)
	v_add_f32_e32 v4, v4, v5
	ds_bpermute_b32 v5, v11, v4
	s_waitcnt lgkmcnt(0)
	v_add_f32_e32 v4, v4, v5
	ds_bpermute_b32 v5, v14, v4
	s_waitcnt lgkmcnt(0)
	v_add_f32_e32 v4, v4, v5
	ds_bpermute_b32 v5, v16, v4
	s_and_saveexec_b32 s2, vcc_lo
	s_cbranch_execz .LBB10_18
; %bb.17:
	s_waitcnt lgkmcnt(0)
	v_add_f32_e32 v4, v4, v5
	ds_store_b32 v15, v4 offset:112
.LBB10_18:
	s_or_b32 exec_lo, exec_lo, s2
	ds_bpermute_b32 v4, v12, v3
	s_waitcnt lgkmcnt(0)
	v_add_f32_e32 v3, v3, v4
	ds_bpermute_b32 v4, v13, v3
	s_waitcnt lgkmcnt(0)
	v_add_f32_e32 v3, v3, v4
	ds_bpermute_b32 v4, v11, v3
	s_waitcnt lgkmcnt(0)
	v_add_f32_e32 v3, v3, v4
	ds_bpermute_b32 v4, v14, v3
	s_waitcnt lgkmcnt(0)
	v_add_f32_e32 v3, v3, v4
	ds_bpermute_b32 v4, v16, v3
	s_and_saveexec_b32 s2, vcc_lo
	s_cbranch_execz .LBB10_20
; %bb.19:
	s_waitcnt lgkmcnt(0)
	v_add_f32_e32 v3, v3, v4
	ds_store_b32 v15, v3 offset:128
.LBB10_20:
	s_or_b32 exec_lo, exec_lo, s2
	ds_bpermute_b32 v3, v12, v2
	s_waitcnt lgkmcnt(0)
	v_add_f32_e32 v2, v2, v3
	ds_bpermute_b32 v3, v13, v2
	s_waitcnt lgkmcnt(0)
	v_add_f32_e32 v2, v2, v3
	ds_bpermute_b32 v3, v11, v2
	s_waitcnt lgkmcnt(0)
	v_add_f32_e32 v2, v2, v3
	ds_bpermute_b32 v3, v14, v2
	s_waitcnt lgkmcnt(0)
	v_add_f32_e32 v2, v2, v3
	ds_bpermute_b32 v3, v16, v2
	s_and_saveexec_b32 s2, vcc_lo
	s_cbranch_execz .LBB10_22
; %bb.21:
	s_waitcnt lgkmcnt(0)
	v_add_f32_e32 v2, v2, v3
	ds_store_b32 v15, v2 offset:144
.LBB10_22:
	s_or_b32 exec_lo, exec_lo, s2
	ds_bpermute_b32 v2, v12, v1
	s_waitcnt lgkmcnt(0)
	v_add_f32_e32 v1, v1, v2
	ds_bpermute_b32 v2, v13, v1
	s_waitcnt lgkmcnt(0)
	v_add_f32_e32 v1, v1, v2
	ds_bpermute_b32 v2, v11, v1
	s_waitcnt lgkmcnt(0)
	v_add_f32_e32 v1, v1, v2
	ds_bpermute_b32 v2, v14, v1
	s_waitcnt lgkmcnt(0)
	v_add_f32_e32 v1, v1, v2
	ds_bpermute_b32 v2, v16, v1
	s_and_saveexec_b32 s2, vcc_lo
	s_cbranch_execz .LBB10_24
; %bb.23:
	s_waitcnt lgkmcnt(0)
	v_add_f32_e32 v1, v1, v2
	ds_store_b32 v15, v1 offset:160
.LBB10_24:
	s_or_b32 exec_lo, exec_lo, s2
	s_waitcnt lgkmcnt(0)
	s_barrier
	buffer_gl0_inv
	s_mov_b32 s2, exec_lo
	v_cmpx_eq_u32_e32 0, v0
	s_cbranch_execz .LBB10_26
; %bb.25:
	v_dual_mov_b32 v44, 0 :: v_dual_mov_b32 v45, 0x1000
	s_ashr_i32 s5, s4, 31
	ds_load_b128 v[0:3], v44
	ds_load_b128 v[4:7], v44 offset:16
	ds_load_b128 v[8:11], v44 offset:32
	;; [unrolled: 1-line block ×10, first 2 shown]
	s_lshl_b64 s[2:3], s[4:5], 2
	s_delay_alu instid0(SALU_CYCLE_1)
	s_add_u32 s0, s0, s2
	s_addc_u32 s1, s1, s3
	s_waitcnt lgkmcnt(7)
	v_add_f32_e32 v12, 0, v12
	v_add_f32_e32 v4, 0, v4
	;; [unrolled: 1-line block ×3, first 2 shown]
	s_waitcnt lgkmcnt(6)
	v_add_f32_e32 v16, 0, v16
	s_delay_alu instid0(VALU_DEP_2) | instskip(SKIP_2) | instid1(VALU_DEP_1)
	v_add_f32_e32 v0, v0, v1
	v_add_f32_e32 v1, v4, v5
	s_waitcnt lgkmcnt(5)
	v_dual_add_f32 v1, v1, v6 :: v_dual_add_f32 v20, 0, v20
	v_add_f32_e32 v5, v12, v13
	s_delay_alu instid0(VALU_DEP_2) | instskip(SKIP_2) | instid1(VALU_DEP_2)
	v_dual_add_f32 v1, v1, v7 :: v_dual_add_f32 v8, 0, v8
	s_waitcnt lgkmcnt(2)
	v_dual_add_f32 v7, 0, v32 :: v_dual_add_f32 v0, v0, v2
	v_add_f32_e32 v4, v8, v9
	v_add_f32_e32 v9, v20, v21
	;; [unrolled: 1-line block ×3, first 2 shown]
	s_delay_alu instid0(VALU_DEP_4) | instskip(SKIP_1) | instid1(VALU_DEP_3)
	v_dual_add_f32 v7, v7, v33 :: v_dual_add_f32 v0, v0, v3
	s_waitcnt lgkmcnt(1)
	v_dual_add_f32 v6, v9, v22 :: v_dual_add_f32 v9, 0, v36
	v_add_f32_e32 v2, v4, v10
	s_delay_alu instid0(VALU_DEP_3) | instskip(SKIP_2) | instid1(VALU_DEP_4)
	v_add_f32_e32 v7, v7, v34
	v_add_f32_e32 v4, v5, v14
	;; [unrolled: 1-line block ×3, first 2 shown]
	v_dual_add_f32 v9, v9, v37 :: v_dual_add_f32 v2, v2, v11
	s_waitcnt lgkmcnt(0)
	v_dual_add_f32 v10, 0, v40 :: v_dual_add_f32 v7, v7, v35
	v_dual_add_f32 v24, 0, v24 :: v_dual_add_f32 v3, v4, v15
	v_add_f32_e32 v4, v5, v19
	v_add_f32_e32 v9, v9, v38
	v_mov_b32_e32 v11, 0x2000
	v_dual_add_f32 v5, v6, v23 :: v_dual_add_f32 v6, 0, v28
	s_delay_alu instid0(VALU_DEP_3) | instskip(SKIP_1) | instid1(VALU_DEP_3)
	v_dual_add_f32 v8, v24, v25 :: v_dual_add_f32 v9, v9, v39
	v_add_f32_e32 v10, v10, v41
	v_add_f32_e32 v6, v6, v29
	s_delay_alu instid0(VALU_DEP_3) | instskip(NEXT) | instid1(VALU_DEP_3)
	v_add_f32_e32 v8, v8, v26
	v_add_f32_e32 v10, v10, v42
	s_delay_alu instid0(VALU_DEP_3) | instskip(NEXT) | instid1(VALU_DEP_3)
	;; [unrolled: 3-line block ×3, first 2 shown]
	v_add_f32_e32 v10, v10, v43
	v_add_f32_e32 v6, v6, v31
	s_clause 0xa
	global_store_b32 v44, v0, s[0:1]
	global_store_b32 v44, v1, s[0:1] offset:1024
	global_store_b32 v44, v2, s[0:1] offset:2048
	;; [unrolled: 1-line block ×3, first 2 shown]
	global_store_b32 v45, v4, s[0:1]
	global_store_b32 v45, v5, s[0:1] offset:1024
	global_store_b32 v45, v8, s[0:1] offset:2048
	;; [unrolled: 1-line block ×3, first 2 shown]
	global_store_b32 v11, v7, s[0:1]
	global_store_b32 v11, v9, s[0:1] offset:1024
	global_store_b32 v11, v10, s[0:1] offset:2048
.LBB10_26:
	s_nop 0
	s_sendmsg sendmsg(MSG_DEALLOC_VGPRS)
	s_endpgm
	.section	.rodata,"a",@progbits
	.p2align	6, 0x0
	.amdhsa_kernel _Z23fp32_router_gemm_kernelIfLi128ELi11ELi256ELi3072EEvPfPKT_PKf
		.amdhsa_group_segment_fixed_size 176
		.amdhsa_private_segment_fixed_size 0
		.amdhsa_kernarg_size 24
		.amdhsa_user_sgpr_count 15
		.amdhsa_user_sgpr_dispatch_ptr 0
		.amdhsa_user_sgpr_queue_ptr 0
		.amdhsa_user_sgpr_kernarg_segment_ptr 1
		.amdhsa_user_sgpr_dispatch_id 0
		.amdhsa_user_sgpr_private_segment_size 0
		.amdhsa_wavefront_size32 1
		.amdhsa_uses_dynamic_stack 0
		.amdhsa_enable_private_segment 0
		.amdhsa_system_sgpr_workgroup_id_x 1
		.amdhsa_system_sgpr_workgroup_id_y 0
		.amdhsa_system_sgpr_workgroup_id_z 0
		.amdhsa_system_sgpr_workgroup_info 0
		.amdhsa_system_vgpr_workitem_id 0
		.amdhsa_next_free_vgpr 66
		.amdhsa_next_free_sgpr 16
		.amdhsa_reserve_vcc 1
		.amdhsa_float_round_mode_32 0
		.amdhsa_float_round_mode_16_64 0
		.amdhsa_float_denorm_mode_32 3
		.amdhsa_float_denorm_mode_16_64 3
		.amdhsa_dx10_clamp 1
		.amdhsa_ieee_mode 1
		.amdhsa_fp16_overflow 0
		.amdhsa_workgroup_processor_mode 1
		.amdhsa_memory_ordered 1
		.amdhsa_forward_progress 0
		.amdhsa_shared_vgpr_count 0
		.amdhsa_exception_fp_ieee_invalid_op 0
		.amdhsa_exception_fp_denorm_src 0
		.amdhsa_exception_fp_ieee_div_zero 0
		.amdhsa_exception_fp_ieee_overflow 0
		.amdhsa_exception_fp_ieee_underflow 0
		.amdhsa_exception_fp_ieee_inexact 0
		.amdhsa_exception_int_div_zero 0
	.end_amdhsa_kernel
	.section	.text._Z23fp32_router_gemm_kernelIfLi128ELi11ELi256ELi3072EEvPfPKT_PKf,"axG",@progbits,_Z23fp32_router_gemm_kernelIfLi128ELi11ELi256ELi3072EEvPfPKT_PKf,comdat
.Lfunc_end10:
	.size	_Z23fp32_router_gemm_kernelIfLi128ELi11ELi256ELi3072EEvPfPKT_PKf, .Lfunc_end10-_Z23fp32_router_gemm_kernelIfLi128ELi11ELi256ELi3072EEvPfPKT_PKf
                                        ; -- End function
	.section	.AMDGPU.csdata,"",@progbits
; Kernel info:
; codeLenInByte = 2480
; NumSgprs: 18
; NumVgprs: 66
; ScratchSize: 0
; MemoryBound: 0
; FloatMode: 240
; IeeeMode: 1
; LDSByteSize: 176 bytes/workgroup (compile time only)
; SGPRBlocks: 2
; VGPRBlocks: 8
; NumSGPRsForWavesPerEU: 18
; NumVGPRsForWavesPerEU: 66
; Occupancy: 16
; WaveLimiterHint : 1
; COMPUTE_PGM_RSRC2:SCRATCH_EN: 0
; COMPUTE_PGM_RSRC2:USER_SGPR: 15
; COMPUTE_PGM_RSRC2:TRAP_HANDLER: 0
; COMPUTE_PGM_RSRC2:TGID_X_EN: 1
; COMPUTE_PGM_RSRC2:TGID_Y_EN: 0
; COMPUTE_PGM_RSRC2:TGID_Z_EN: 0
; COMPUTE_PGM_RSRC2:TIDIG_COMP_CNT: 0
	.section	.text._Z23fp32_router_gemm_kernelIfLi128ELi12ELi256ELi3072EEvPfPKT_PKf,"axG",@progbits,_Z23fp32_router_gemm_kernelIfLi128ELi12ELi256ELi3072EEvPfPKT_PKf,comdat
	.protected	_Z23fp32_router_gemm_kernelIfLi128ELi12ELi256ELi3072EEvPfPKT_PKf ; -- Begin function _Z23fp32_router_gemm_kernelIfLi128ELi12ELi256ELi3072EEvPfPKT_PKf
	.globl	_Z23fp32_router_gemm_kernelIfLi128ELi12ELi256ELi3072EEvPfPKT_PKf
	.p2align	8
	.type	_Z23fp32_router_gemm_kernelIfLi128ELi12ELi256ELi3072EEvPfPKT_PKf,@function
_Z23fp32_router_gemm_kernelIfLi128ELi12ELi256ELi3072EEvPfPKT_PKf: ; @_Z23fp32_router_gemm_kernelIfLi128ELi12ELi256ELi3072EEvPfPKT_PKf
; %bb.0:
	s_clause 0x1
	s_load_b128 s[4:7], s[0:1], 0x0
	s_load_b64 s[0:1], s[0:1], 0x10
	v_dual_mov_b32 v12, 0 :: v_dual_lshlrev_b32 v13, 2, v0
	s_mul_i32 s8, s15, 0xc00
	v_dual_mov_b32 v11, 0 :: v_dual_mov_b32 v10, 0
	s_ashr_i32 s9, s8, 31
	s_delay_alu instid0(VALU_DEP_2)
	v_or_b32_e32 v14, 0x200, v13
	v_or_b32_e32 v15, 0x400, v13
	;; [unrolled: 1-line block ×5, first 2 shown]
	s_lshl_b64 s[8:9], s[8:9], 2
	v_dual_mov_b32 v9, 0 :: v_dual_mov_b32 v8, 0
	v_dual_mov_b32 v7, 0 :: v_dual_mov_b32 v6, 0
	;; [unrolled: 1-line block ×4, first 2 shown]
	v_mov_b32_e32 v1, 0
	s_waitcnt lgkmcnt(0)
	s_add_u32 s0, s0, s8
	s_mov_b32 s2, s15
	s_addc_u32 s1, s1, s9
	s_mov_b64 s[8:9], 0
.LBB11_1:                               ; =>This Inner Loop Header: Depth=1
	s_delay_alu instid0(SALU_CYCLE_1)
	s_cmp_eq_u32 s8, 1
	s_cselect_b32 vcc_lo, -1, 0
	s_cmp_eq_u32 s8, 2
	v_cndmask_b32_e32 v19, v13, v14, vcc_lo
	s_cselect_b32 vcc_lo, -1, 0
	s_cmp_eq_u32 s8, 3
	s_delay_alu instid0(VALU_DEP_1) | instskip(SKIP_2) | instid1(VALU_DEP_1)
	v_cndmask_b32_e32 v19, v19, v15, vcc_lo
	s_cselect_b32 vcc_lo, -1, 0
	s_cmp_eq_u32 s8, 4
	v_cndmask_b32_e32 v19, v19, v16, vcc_lo
	s_cselect_b32 vcc_lo, -1, 0
	s_cmp_eq_u32 s8, 5
	s_delay_alu instid0(VALU_DEP_1)
	v_cndmask_b32_e32 v19, v19, v17, vcc_lo
	s_cselect_b32 vcc_lo, -1, 0
	s_add_u32 s8, s8, 1
	s_addc_u32 s9, s9, 0
	s_cmp_eq_u32 s8, 6
	v_cndmask_b32_e32 v19, v19, v18, vcc_lo
	s_delay_alu instid0(VALU_DEP_1) | instskip(NEXT) | instid1(VALU_DEP_1)
	v_lshlrev_b32_e32 v23, 2, v19
	v_add_co_u32 v29, s3, s6, v23
	s_delay_alu instid0(VALU_DEP_1)
	v_add_co_ci_u32_e64 v30, null, s7, 0, s3
	s_clause 0x1
	global_load_b128 v[19:22], v23, s[0:1]
	global_load_b128 v[23:26], v23, s[6:7]
	v_add_co_u32 v27, vcc_lo, 0x3000, v29
	v_add_co_ci_u32_e32 v28, vcc_lo, 0, v30, vcc_lo
	v_add_co_u32 v31, vcc_lo, 0x6000, v29
	v_add_co_ci_u32_e32 v32, vcc_lo, 0, v30, vcc_lo
	;; [unrolled: 2-line block ×11, first 2 shown]
	s_clause 0xa
	global_load_b128 v[27:30], v[27:28], off
	global_load_b128 v[31:34], v[31:32], off
	;; [unrolled: 1-line block ×11, first 2 shown]
	s_waitcnt vmcnt(0)
	v_fmac_f32_e32 v1, v67, v19
	s_delay_alu instid0(VALU_DEP_1) | instskip(NEXT) | instid1(VALU_DEP_1)
	v_dual_fmac_f32 v2, v63, v19 :: v_dual_fmac_f32 v1, v68, v20
	v_dual_fmac_f32 v9, v35, v19 :: v_dual_fmac_f32 v2, v64, v20
	s_delay_alu instid0(VALU_DEP_2) | instskip(NEXT) | instid1(VALU_DEP_2)
	v_dual_fmac_f32 v10, v31, v19 :: v_dual_fmac_f32 v1, v69, v21
	v_fmac_f32_e32 v9, v36, v20
	s_delay_alu instid0(VALU_DEP_2) | instskip(NEXT) | instid1(VALU_DEP_1)
	v_dual_fmac_f32 v10, v32, v20 :: v_dual_fmac_f32 v7, v43, v19
	v_dual_fmac_f32 v1, v70, v22 :: v_dual_fmac_f32 v10, v33, v21
	s_delay_alu instid0(VALU_DEP_2) | instskip(NEXT) | instid1(VALU_DEP_2)
	v_dual_fmac_f32 v8, v39, v19 :: v_dual_fmac_f32 v7, v44, v20
	v_fmac_f32_e32 v10, v34, v22
	s_delay_alu instid0(VALU_DEP_2) | instskip(NEXT) | instid1(VALU_DEP_1)
	v_dual_fmac_f32 v8, v40, v20 :: v_dual_fmac_f32 v5, v51, v19
	v_fmac_f32_e32 v8, v41, v21
	s_delay_alu instid0(VALU_DEP_2) | instskip(NEXT) | instid1(VALU_DEP_2)
	v_dual_fmac_f32 v6, v47, v19 :: v_dual_fmac_f32 v5, v52, v20
	v_dual_fmac_f32 v9, v37, v21 :: v_dual_fmac_f32 v8, v42, v22
	s_delay_alu instid0(VALU_DEP_2) | instskip(NEXT) | instid1(VALU_DEP_1)
	v_dual_fmac_f32 v6, v48, v20 :: v_dual_fmac_f32 v3, v59, v19
	v_dual_fmac_f32 v9, v38, v22 :: v_dual_fmac_f32 v6, v49, v21
	s_delay_alu instid0(VALU_DEP_2) | instskip(SKIP_1) | instid1(VALU_DEP_3)
	v_dual_fmac_f32 v4, v55, v19 :: v_dual_fmac_f32 v3, v60, v20
	v_fmac_f32_e32 v11, v27, v19
	v_dual_fmac_f32 v7, v45, v21 :: v_dual_fmac_f32 v6, v50, v22
	s_delay_alu instid0(VALU_DEP_3) | instskip(NEXT) | instid1(VALU_DEP_3)
	v_fmac_f32_e32 v4, v56, v20
	v_dual_fmac_f32 v12, v23, v19 :: v_dual_fmac_f32 v11, v28, v20
	s_delay_alu instid0(VALU_DEP_2) | instskip(NEXT) | instid1(VALU_DEP_2)
	v_dual_fmac_f32 v7, v46, v22 :: v_dual_fmac_f32 v4, v57, v21
	v_dual_fmac_f32 v12, v24, v20 :: v_dual_fmac_f32 v11, v29, v21
	v_fmac_f32_e32 v5, v53, v21
	v_fmac_f32_e32 v2, v65, v21
	s_delay_alu instid0(VALU_DEP_4) | instskip(NEXT) | instid1(VALU_DEP_4)
	v_fmac_f32_e32 v4, v58, v22
	v_dual_fmac_f32 v12, v25, v21 :: v_dual_fmac_f32 v11, v30, v22
	s_delay_alu instid0(VALU_DEP_3) | instskip(SKIP_1) | instid1(VALU_DEP_3)
	v_dual_fmac_f32 v3, v61, v21 :: v_dual_fmac_f32 v2, v66, v22
	v_fmac_f32_e32 v5, v54, v22
	v_fmac_f32_e32 v12, v26, v22
	s_delay_alu instid0(VALU_DEP_3)
	v_fmac_f32_e32 v3, v62, v22
	s_cbranch_scc0 .LBB11_1
; %bb.2:
	v_mbcnt_lo_u32_b32 v16, -1, 0
	v_lshrrev_b32_e32 v20, 5, v0
	s_delay_alu instid0(VALU_DEP_2) | instskip(SKIP_1) | instid1(VALU_DEP_2)
	v_xor_b32_e32 v13, 16, v16
	v_xor_b32_e32 v14, 8, v16
	v_cmp_gt_i32_e32 vcc_lo, 32, v13
	v_cndmask_b32_e32 v13, v16, v13, vcc_lo
	s_delay_alu instid0(VALU_DEP_3) | instskip(SKIP_1) | instid1(VALU_DEP_1)
	v_cmp_gt_i32_e32 vcc_lo, 32, v14
	v_cndmask_b32_e32 v14, v16, v14, vcc_lo
	v_lshlrev_b32_e32 v14, 2, v14
	s_delay_alu instid0(VALU_DEP_4) | instskip(SKIP_4) | instid1(VALU_DEP_1)
	v_lshlrev_b32_e32 v13, 2, v13
	ds_bpermute_b32 v15, v13, v12
	s_waitcnt lgkmcnt(0)
	v_add_f32_e32 v15, v12, v15
	v_xor_b32_e32 v12, 4, v16
	v_cmp_gt_i32_e32 vcc_lo, 32, v12
	v_cndmask_b32_e32 v12, v16, v12, vcc_lo
	s_delay_alu instid0(VALU_DEP_1)
	v_lshlrev_b32_e32 v12, 2, v12
	ds_bpermute_b32 v17, v14, v15
	s_waitcnt lgkmcnt(0)
	v_add_f32_e32 v17, v15, v17
	v_xor_b32_e32 v15, 2, v16
	ds_bpermute_b32 v18, v12, v17
	v_cmp_gt_i32_e32 vcc_lo, 32, v15
	s_waitcnt lgkmcnt(0)
	v_dual_cndmask_b32 v15, v16, v15 :: v_dual_add_f32 v18, v17, v18
	v_xor_b32_e32 v17, 1, v16
	s_delay_alu instid0(VALU_DEP_1) | instskip(NEXT) | instid1(VALU_DEP_3)
	v_cmp_gt_i32_e32 vcc_lo, 32, v17
	v_dual_cndmask_b32 v16, v16, v17 :: v_dual_lshlrev_b32 v15, 2, v15
	ds_bpermute_b32 v19, v15, v18
	v_lshlrev_b32_e32 v17, 2, v16
	v_and_b32_e32 v16, 31, v0
	s_delay_alu instid0(VALU_DEP_1)
	v_cmp_eq_u32_e32 vcc_lo, 0, v16
	v_lshlrev_b32_e32 v16, 2, v20
	s_waitcnt lgkmcnt(0)
	v_add_f32_e32 v18, v18, v19
	ds_bpermute_b32 v19, v17, v18
	s_and_saveexec_b32 s0, vcc_lo
	s_cbranch_execz .LBB11_4
; %bb.3:
	s_waitcnt lgkmcnt(0)
	v_add_f32_e32 v18, v18, v19
	ds_store_b32 v16, v18
.LBB11_4:
	s_or_b32 exec_lo, exec_lo, s0
	ds_bpermute_b32 v18, v13, v11
	s_waitcnt lgkmcnt(0)
	v_add_f32_e32 v11, v11, v18
	ds_bpermute_b32 v18, v14, v11
	s_waitcnt lgkmcnt(0)
	v_add_f32_e32 v11, v11, v18
	ds_bpermute_b32 v18, v12, v11
	s_waitcnt lgkmcnt(0)
	v_add_f32_e32 v11, v11, v18
	ds_bpermute_b32 v18, v15, v11
	s_waitcnt lgkmcnt(0)
	v_add_f32_e32 v11, v11, v18
	ds_bpermute_b32 v18, v17, v11
	s_and_saveexec_b32 s0, vcc_lo
	s_cbranch_execz .LBB11_6
; %bb.5:
	s_waitcnt lgkmcnt(0)
	v_add_f32_e32 v11, v11, v18
	ds_store_b32 v16, v11 offset:16
.LBB11_6:
	s_or_b32 exec_lo, exec_lo, s0
	ds_bpermute_b32 v11, v13, v10
	s_waitcnt lgkmcnt(0)
	v_add_f32_e32 v10, v10, v11
	ds_bpermute_b32 v11, v14, v10
	s_waitcnt lgkmcnt(0)
	v_add_f32_e32 v10, v10, v11
	ds_bpermute_b32 v11, v12, v10
	s_waitcnt lgkmcnt(0)
	v_add_f32_e32 v10, v10, v11
	ds_bpermute_b32 v11, v15, v10
	s_waitcnt lgkmcnt(0)
	v_add_f32_e32 v10, v10, v11
	ds_bpermute_b32 v11, v17, v10
	s_and_saveexec_b32 s0, vcc_lo
	s_cbranch_execz .LBB11_8
; %bb.7:
	s_waitcnt lgkmcnt(0)
	v_add_f32_e32 v10, v10, v11
	ds_store_b32 v16, v10 offset:32
.LBB11_8:
	s_or_b32 exec_lo, exec_lo, s0
	ds_bpermute_b32 v10, v13, v9
	s_waitcnt lgkmcnt(0)
	v_add_f32_e32 v9, v9, v10
	ds_bpermute_b32 v10, v14, v9
	s_waitcnt lgkmcnt(0)
	v_add_f32_e32 v9, v9, v10
	ds_bpermute_b32 v10, v12, v9
	s_waitcnt lgkmcnt(0)
	v_add_f32_e32 v9, v9, v10
	ds_bpermute_b32 v10, v15, v9
	s_waitcnt lgkmcnt(0)
	v_add_f32_e32 v9, v9, v10
	ds_bpermute_b32 v10, v17, v9
	s_and_saveexec_b32 s0, vcc_lo
	s_cbranch_execz .LBB11_10
; %bb.9:
	s_waitcnt lgkmcnt(0)
	v_add_f32_e32 v9, v9, v10
	ds_store_b32 v16, v9 offset:48
.LBB11_10:
	s_or_b32 exec_lo, exec_lo, s0
	ds_bpermute_b32 v9, v13, v8
	s_waitcnt lgkmcnt(0)
	v_add_f32_e32 v8, v8, v9
	ds_bpermute_b32 v9, v14, v8
	s_waitcnt lgkmcnt(0)
	v_add_f32_e32 v8, v8, v9
	ds_bpermute_b32 v9, v12, v8
	s_waitcnt lgkmcnt(0)
	v_add_f32_e32 v8, v8, v9
	ds_bpermute_b32 v9, v15, v8
	s_waitcnt lgkmcnt(0)
	v_add_f32_e32 v8, v8, v9
	ds_bpermute_b32 v9, v17, v8
	s_and_saveexec_b32 s0, vcc_lo
	s_cbranch_execz .LBB11_12
; %bb.11:
	s_waitcnt lgkmcnt(0)
	v_add_f32_e32 v8, v8, v9
	ds_store_b32 v16, v8 offset:64
.LBB11_12:
	s_or_b32 exec_lo, exec_lo, s0
	ds_bpermute_b32 v8, v13, v7
	s_waitcnt lgkmcnt(0)
	v_add_f32_e32 v7, v7, v8
	ds_bpermute_b32 v8, v14, v7
	s_waitcnt lgkmcnt(0)
	v_add_f32_e32 v7, v7, v8
	ds_bpermute_b32 v8, v12, v7
	s_waitcnt lgkmcnt(0)
	v_add_f32_e32 v7, v7, v8
	ds_bpermute_b32 v8, v15, v7
	s_waitcnt lgkmcnt(0)
	v_add_f32_e32 v7, v7, v8
	ds_bpermute_b32 v8, v17, v7
	s_and_saveexec_b32 s0, vcc_lo
	s_cbranch_execz .LBB11_14
; %bb.13:
	s_waitcnt lgkmcnt(0)
	v_add_f32_e32 v7, v7, v8
	ds_store_b32 v16, v7 offset:80
.LBB11_14:
	s_or_b32 exec_lo, exec_lo, s0
	ds_bpermute_b32 v7, v13, v6
	s_waitcnt lgkmcnt(0)
	v_add_f32_e32 v6, v6, v7
	ds_bpermute_b32 v7, v14, v6
	s_waitcnt lgkmcnt(0)
	v_add_f32_e32 v6, v6, v7
	ds_bpermute_b32 v7, v12, v6
	s_waitcnt lgkmcnt(0)
	v_add_f32_e32 v6, v6, v7
	ds_bpermute_b32 v7, v15, v6
	s_waitcnt lgkmcnt(0)
	v_add_f32_e32 v6, v6, v7
	ds_bpermute_b32 v7, v17, v6
	s_and_saveexec_b32 s0, vcc_lo
	s_cbranch_execz .LBB11_16
; %bb.15:
	s_waitcnt lgkmcnt(0)
	v_add_f32_e32 v6, v6, v7
	ds_store_b32 v16, v6 offset:96
.LBB11_16:
	s_or_b32 exec_lo, exec_lo, s0
	ds_bpermute_b32 v6, v13, v5
	s_waitcnt lgkmcnt(0)
	v_add_f32_e32 v5, v5, v6
	ds_bpermute_b32 v6, v14, v5
	s_waitcnt lgkmcnt(0)
	v_add_f32_e32 v5, v5, v6
	ds_bpermute_b32 v6, v12, v5
	s_waitcnt lgkmcnt(0)
	v_add_f32_e32 v5, v5, v6
	ds_bpermute_b32 v6, v15, v5
	s_waitcnt lgkmcnt(0)
	v_add_f32_e32 v5, v5, v6
	ds_bpermute_b32 v6, v17, v5
	s_and_saveexec_b32 s0, vcc_lo
	s_cbranch_execz .LBB11_18
; %bb.17:
	s_waitcnt lgkmcnt(0)
	v_add_f32_e32 v5, v5, v6
	ds_store_b32 v16, v5 offset:112
.LBB11_18:
	s_or_b32 exec_lo, exec_lo, s0
	ds_bpermute_b32 v5, v13, v4
	s_waitcnt lgkmcnt(0)
	v_add_f32_e32 v4, v4, v5
	ds_bpermute_b32 v5, v14, v4
	s_waitcnt lgkmcnt(0)
	v_add_f32_e32 v4, v4, v5
	ds_bpermute_b32 v5, v12, v4
	s_waitcnt lgkmcnt(0)
	v_add_f32_e32 v4, v4, v5
	ds_bpermute_b32 v5, v15, v4
	s_waitcnt lgkmcnt(0)
	v_add_f32_e32 v4, v4, v5
	ds_bpermute_b32 v5, v17, v4
	s_and_saveexec_b32 s0, vcc_lo
	s_cbranch_execz .LBB11_20
; %bb.19:
	s_waitcnt lgkmcnt(0)
	v_add_f32_e32 v4, v4, v5
	ds_store_b32 v16, v4 offset:128
.LBB11_20:
	s_or_b32 exec_lo, exec_lo, s0
	ds_bpermute_b32 v4, v13, v3
	s_waitcnt lgkmcnt(0)
	v_add_f32_e32 v3, v3, v4
	ds_bpermute_b32 v4, v14, v3
	s_waitcnt lgkmcnt(0)
	v_add_f32_e32 v3, v3, v4
	ds_bpermute_b32 v4, v12, v3
	s_waitcnt lgkmcnt(0)
	v_add_f32_e32 v3, v3, v4
	ds_bpermute_b32 v4, v15, v3
	s_waitcnt lgkmcnt(0)
	v_add_f32_e32 v3, v3, v4
	ds_bpermute_b32 v4, v17, v3
	s_and_saveexec_b32 s0, vcc_lo
	s_cbranch_execz .LBB11_22
; %bb.21:
	s_waitcnt lgkmcnt(0)
	v_add_f32_e32 v3, v3, v4
	ds_store_b32 v16, v3 offset:144
.LBB11_22:
	s_or_b32 exec_lo, exec_lo, s0
	ds_bpermute_b32 v3, v13, v2
	s_waitcnt lgkmcnt(0)
	v_add_f32_e32 v2, v2, v3
	ds_bpermute_b32 v3, v14, v2
	s_waitcnt lgkmcnt(0)
	v_add_f32_e32 v2, v2, v3
	ds_bpermute_b32 v3, v12, v2
	s_waitcnt lgkmcnt(0)
	v_add_f32_e32 v2, v2, v3
	ds_bpermute_b32 v3, v15, v2
	s_waitcnt lgkmcnt(0)
	v_add_f32_e32 v2, v2, v3
	ds_bpermute_b32 v3, v17, v2
	s_and_saveexec_b32 s0, vcc_lo
	s_cbranch_execz .LBB11_24
; %bb.23:
	s_waitcnt lgkmcnt(0)
	v_add_f32_e32 v2, v2, v3
	ds_store_b32 v16, v2 offset:160
.LBB11_24:
	s_or_b32 exec_lo, exec_lo, s0
	ds_bpermute_b32 v2, v13, v1
	s_waitcnt lgkmcnt(0)
	v_add_f32_e32 v1, v1, v2
	ds_bpermute_b32 v2, v14, v1
	s_waitcnt lgkmcnt(0)
	v_add_f32_e32 v1, v1, v2
	ds_bpermute_b32 v2, v12, v1
	s_waitcnt lgkmcnt(0)
	v_add_f32_e32 v1, v1, v2
	ds_bpermute_b32 v2, v15, v1
	s_waitcnt lgkmcnt(0)
	v_add_f32_e32 v1, v1, v2
	ds_bpermute_b32 v2, v17, v1
	s_and_saveexec_b32 s0, vcc_lo
	s_cbranch_execz .LBB11_26
; %bb.25:
	s_waitcnt lgkmcnt(0)
	v_add_f32_e32 v1, v1, v2
	ds_store_b32 v16, v1 offset:176
.LBB11_26:
	s_or_b32 exec_lo, exec_lo, s0
	s_waitcnt lgkmcnt(0)
	s_barrier
	buffer_gl0_inv
	s_mov_b32 s0, exec_lo
	v_cmpx_eq_u32_e32 0, v0
	s_cbranch_execz .LBB11_28
; %bb.27:
	v_mov_b32_e32 v48, 0
	s_ashr_i32 s3, s2, 31
	ds_load_b128 v[0:3], v48
	ds_load_b128 v[4:7], v48 offset:16
	ds_load_b128 v[8:11], v48 offset:32
	;; [unrolled: 1-line block ×6, first 2 shown]
	s_lshl_b64 s[0:1], s[2:3], 2
	s_delay_alu instid0(SALU_CYCLE_1)
	s_add_u32 s0, s4, s0
	s_addc_u32 s1, s5, s1
	s_waitcnt lgkmcnt(3)
	v_add_f32_e32 v12, 0, v12
	v_add_f32_e32 v0, 0, v0
	s_waitcnt lgkmcnt(1)
	v_add_f32_e32 v20, 0, v20
	v_add_f32_e32 v4, 0, v4
	s_delay_alu instid0(VALU_DEP_3) | instskip(NEXT) | instid1(VALU_DEP_2)
	v_add_f32_e32 v0, v0, v1
	v_add_f32_e32 v1, v4, v5
	ds_load_b128 v[28:31], v48 offset:112
	ds_load_b128 v[32:35], v48 offset:128
	;; [unrolled: 1-line block ×5, first 2 shown]
	v_dual_add_f32 v8, 0, v8 :: v_dual_add_f32 v5, v12, v13
	v_mov_b32_e32 v13, 0x2000
	v_dual_add_f32 v1, v1, v6 :: v_dual_add_f32 v16, 0, v16
	s_delay_alu instid0(VALU_DEP_1) | instskip(SKIP_1) | instid1(VALU_DEP_2)
	v_dual_add_f32 v4, v8, v9 :: v_dual_add_f32 v1, v1, v7
	s_waitcnt lgkmcnt(4)
	v_dual_add_f32 v8, v16, v17 :: v_dual_add_f32 v7, 0, v28
	v_add_f32_e32 v0, v0, v2
	s_delay_alu instid0(VALU_DEP_3) | instskip(SKIP_4) | instid1(VALU_DEP_3)
	v_add_f32_e32 v2, v4, v10
	v_add_f32_e32 v4, v5, v14
	s_waitcnt lgkmcnt(2)
	v_dual_add_f32 v10, 0, v36 :: v_dual_add_f32 v7, v7, v29
	v_add_f32_e32 v0, v0, v3
	v_add_f32_e32 v3, v4, v15
	v_add_f32_e32 v9, v20, v21
	s_delay_alu instid0(VALU_DEP_4) | instskip(NEXT) | instid1(VALU_DEP_1)
	v_dual_add_f32 v7, v7, v30 :: v_dual_add_f32 v10, v10, v37
	v_dual_add_f32 v6, v9, v22 :: v_dual_add_f32 v7, v7, v31
	s_delay_alu instid0(VALU_DEP_2) | instskip(NEXT) | instid1(VALU_DEP_1)
	v_dual_add_f32 v9, 0, v32 :: v_dual_add_f32 v10, v10, v38
	v_dual_add_f32 v6, v6, v23 :: v_dual_add_f32 v9, v9, v33
	s_waitcnt lgkmcnt(1)
	v_dual_add_f32 v2, v2, v11 :: v_dual_add_f32 v11, 0, v40
	v_dual_add_f32 v5, v8, v18 :: v_dual_add_f32 v24, 0, v24
	s_delay_alu instid0(VALU_DEP_3) | instskip(NEXT) | instid1(VALU_DEP_3)
	v_dual_add_f32 v9, v9, v34 :: v_dual_add_f32 v10, v10, v39
	v_add_f32_e32 v11, v11, v41
	s_delay_alu instid0(VALU_DEP_3) | instskip(NEXT) | instid1(VALU_DEP_3)
	v_dual_add_f32 v5, v5, v19 :: v_dual_add_f32 v12, v24, v25
	v_add_f32_e32 v9, v9, v35
	s_delay_alu instid0(VALU_DEP_3) | instskip(NEXT) | instid1(VALU_DEP_3)
	v_dual_add_f32 v11, v11, v42 :: v_dual_mov_b32 v8, 0x1000
	v_add_f32_e32 v4, v12, v26
	s_waitcnt lgkmcnt(0)
	s_delay_alu instid0(VALU_DEP_2) | instskip(NEXT) | instid1(VALU_DEP_2)
	v_dual_add_f32 v12, 0, v44 :: v_dual_add_f32 v11, v11, v43
	v_add_f32_e32 v4, v4, v27
	s_delay_alu instid0(VALU_DEP_2) | instskip(NEXT) | instid1(VALU_DEP_1)
	v_add_f32_e32 v12, v12, v45
	v_add_f32_e32 v12, v12, v46
	s_delay_alu instid0(VALU_DEP_1)
	v_add_f32_e32 v12, v12, v47
	s_clause 0xb
	global_store_b32 v48, v0, s[0:1]
	global_store_b32 v48, v1, s[0:1] offset:1024
	global_store_b32 v48, v2, s[0:1] offset:2048
	global_store_b32 v48, v3, s[0:1] offset:3072
	global_store_b32 v8, v5, s[0:1]
	global_store_b32 v8, v6, s[0:1] offset:1024
	global_store_b32 v8, v4, s[0:1] offset:2048
	global_store_b32 v8, v7, s[0:1] offset:3072
	;; [unrolled: 4-line block ×3, first 2 shown]
.LBB11_28:
	s_nop 0
	s_sendmsg sendmsg(MSG_DEALLOC_VGPRS)
	s_endpgm
	.section	.rodata,"a",@progbits
	.p2align	6, 0x0
	.amdhsa_kernel _Z23fp32_router_gemm_kernelIfLi128ELi12ELi256ELi3072EEvPfPKT_PKf
		.amdhsa_group_segment_fixed_size 192
		.amdhsa_private_segment_fixed_size 0
		.amdhsa_kernarg_size 24
		.amdhsa_user_sgpr_count 15
		.amdhsa_user_sgpr_dispatch_ptr 0
		.amdhsa_user_sgpr_queue_ptr 0
		.amdhsa_user_sgpr_kernarg_segment_ptr 1
		.amdhsa_user_sgpr_dispatch_id 0
		.amdhsa_user_sgpr_private_segment_size 0
		.amdhsa_wavefront_size32 1
		.amdhsa_uses_dynamic_stack 0
		.amdhsa_enable_private_segment 0
		.amdhsa_system_sgpr_workgroup_id_x 1
		.amdhsa_system_sgpr_workgroup_id_y 0
		.amdhsa_system_sgpr_workgroup_id_z 0
		.amdhsa_system_sgpr_workgroup_info 0
		.amdhsa_system_vgpr_workitem_id 0
		.amdhsa_next_free_vgpr 71
		.amdhsa_next_free_sgpr 16
		.amdhsa_reserve_vcc 1
		.amdhsa_float_round_mode_32 0
		.amdhsa_float_round_mode_16_64 0
		.amdhsa_float_denorm_mode_32 3
		.amdhsa_float_denorm_mode_16_64 3
		.amdhsa_dx10_clamp 1
		.amdhsa_ieee_mode 1
		.amdhsa_fp16_overflow 0
		.amdhsa_workgroup_processor_mode 1
		.amdhsa_memory_ordered 1
		.amdhsa_forward_progress 0
		.amdhsa_shared_vgpr_count 0
		.amdhsa_exception_fp_ieee_invalid_op 0
		.amdhsa_exception_fp_denorm_src 0
		.amdhsa_exception_fp_ieee_div_zero 0
		.amdhsa_exception_fp_ieee_overflow 0
		.amdhsa_exception_fp_ieee_underflow 0
		.amdhsa_exception_fp_ieee_inexact 0
		.amdhsa_exception_int_div_zero 0
	.end_amdhsa_kernel
	.section	.text._Z23fp32_router_gemm_kernelIfLi128ELi12ELi256ELi3072EEvPfPKT_PKf,"axG",@progbits,_Z23fp32_router_gemm_kernelIfLi128ELi12ELi256ELi3072EEvPfPKT_PKf,comdat
.Lfunc_end11:
	.size	_Z23fp32_router_gemm_kernelIfLi128ELi12ELi256ELi3072EEvPfPKT_PKf, .Lfunc_end11-_Z23fp32_router_gemm_kernelIfLi128ELi12ELi256ELi3072EEvPfPKT_PKf
                                        ; -- End function
	.section	.AMDGPU.csdata,"",@progbits
; Kernel info:
; codeLenInByte = 2668
; NumSgprs: 18
; NumVgprs: 71
; ScratchSize: 0
; MemoryBound: 0
; FloatMode: 240
; IeeeMode: 1
; LDSByteSize: 192 bytes/workgroup (compile time only)
; SGPRBlocks: 2
; VGPRBlocks: 8
; NumSGPRsForWavesPerEU: 18
; NumVGPRsForWavesPerEU: 71
; Occupancy: 16
; WaveLimiterHint : 1
; COMPUTE_PGM_RSRC2:SCRATCH_EN: 0
; COMPUTE_PGM_RSRC2:USER_SGPR: 15
; COMPUTE_PGM_RSRC2:TRAP_HANDLER: 0
; COMPUTE_PGM_RSRC2:TGID_X_EN: 1
; COMPUTE_PGM_RSRC2:TGID_Y_EN: 0
; COMPUTE_PGM_RSRC2:TGID_Z_EN: 0
; COMPUTE_PGM_RSRC2:TIDIG_COMP_CNT: 0
	.section	.text._Z23fp32_router_gemm_kernelIfLi128ELi13ELi256ELi3072EEvPfPKT_PKf,"axG",@progbits,_Z23fp32_router_gemm_kernelIfLi128ELi13ELi256ELi3072EEvPfPKT_PKf,comdat
	.protected	_Z23fp32_router_gemm_kernelIfLi128ELi13ELi256ELi3072EEvPfPKT_PKf ; -- Begin function _Z23fp32_router_gemm_kernelIfLi128ELi13ELi256ELi3072EEvPfPKT_PKf
	.globl	_Z23fp32_router_gemm_kernelIfLi128ELi13ELi256ELi3072EEvPfPKT_PKf
	.p2align	8
	.type	_Z23fp32_router_gemm_kernelIfLi128ELi13ELi256ELi3072EEvPfPKT_PKf,@function
_Z23fp32_router_gemm_kernelIfLi128ELi13ELi256ELi3072EEvPfPKT_PKf: ; @_Z23fp32_router_gemm_kernelIfLi128ELi13ELi256ELi3072EEvPfPKT_PKf
; %bb.0:
	s_clause 0x1
	s_load_b128 s[4:7], s[0:1], 0x0
	s_load_b64 s[0:1], s[0:1], 0x10
	v_dual_mov_b32 v13, 0 :: v_dual_lshlrev_b32 v14, 2, v0
	s_mul_i32 s8, s15, 0xc00
	v_dual_mov_b32 v12, 0 :: v_dual_mov_b32 v11, 0
	s_ashr_i32 s9, s8, 31
	s_delay_alu instid0(VALU_DEP_2)
	v_or_b32_e32 v15, 0x200, v14
	v_or_b32_e32 v16, 0x400, v14
	;; [unrolled: 1-line block ×5, first 2 shown]
	s_lshl_b64 s[8:9], s[8:9], 2
	v_dual_mov_b32 v10, 0 :: v_dual_mov_b32 v9, 0
	v_dual_mov_b32 v8, 0 :: v_dual_mov_b32 v7, 0
	;; [unrolled: 1-line block ×5, first 2 shown]
	s_waitcnt lgkmcnt(0)
	s_add_u32 s0, s0, s8
	s_mov_b32 s2, s15
	s_addc_u32 s1, s1, s9
	s_mov_b64 s[8:9], 0
.LBB12_1:                               ; =>This Inner Loop Header: Depth=1
	s_delay_alu instid0(SALU_CYCLE_1)
	s_cmp_eq_u32 s8, 1
	s_cselect_b32 vcc_lo, -1, 0
	s_cmp_eq_u32 s8, 2
	v_cndmask_b32_e32 v20, v14, v15, vcc_lo
	s_cselect_b32 vcc_lo, -1, 0
	s_cmp_eq_u32 s8, 3
	s_delay_alu instid0(VALU_DEP_1) | instskip(SKIP_2) | instid1(VALU_DEP_1)
	v_cndmask_b32_e32 v20, v20, v16, vcc_lo
	s_cselect_b32 vcc_lo, -1, 0
	s_cmp_eq_u32 s8, 4
	v_cndmask_b32_e32 v20, v20, v17, vcc_lo
	s_cselect_b32 vcc_lo, -1, 0
	s_cmp_eq_u32 s8, 5
	s_delay_alu instid0(VALU_DEP_1)
	v_cndmask_b32_e32 v20, v20, v18, vcc_lo
	s_cselect_b32 vcc_lo, -1, 0
	s_add_u32 s8, s8, 1
	s_addc_u32 s9, s9, 0
	s_cmp_eq_u32 s8, 6
	v_cndmask_b32_e32 v20, v20, v19, vcc_lo
	s_delay_alu instid0(VALU_DEP_1) | instskip(NEXT) | instid1(VALU_DEP_1)
	v_lshlrev_b32_e32 v24, 2, v20
	v_add_co_u32 v30, s3, s6, v24
	s_delay_alu instid0(VALU_DEP_1)
	v_add_co_ci_u32_e64 v31, null, s7, 0, s3
	s_clause 0x1
	global_load_b128 v[20:23], v24, s[0:1]
	global_load_b128 v[24:27], v24, s[6:7]
	v_add_co_u32 v28, vcc_lo, 0x3000, v30
	v_add_co_ci_u32_e32 v29, vcc_lo, 0, v31, vcc_lo
	v_add_co_u32 v32, vcc_lo, 0x6000, v30
	v_add_co_ci_u32_e32 v33, vcc_lo, 0, v31, vcc_lo
	;; [unrolled: 2-line block ×12, first 2 shown]
	s_clause 0xb
	global_load_b128 v[28:31], v[28:29], off
	global_load_b128 v[32:35], v[32:33], off
	;; [unrolled: 1-line block ×12, first 2 shown]
	s_waitcnt vmcnt(1)
	v_fmac_f32_e32 v2, v68, v20
	s_waitcnt vmcnt(0)
	v_fmac_f32_e32 v1, v72, v20
	v_fmac_f32_e32 v8, v44, v20
	s_delay_alu instid0(VALU_DEP_3) | instskip(NEXT) | instid1(VALU_DEP_3)
	v_dual_fmac_f32 v3, v64, v20 :: v_dual_fmac_f32 v2, v69, v21
	v_fmac_f32_e32 v1, v73, v21
	s_delay_alu instid0(VALU_DEP_3) | instskip(NEXT) | instid1(VALU_DEP_3)
	v_dual_fmac_f32 v9, v40, v20 :: v_dual_fmac_f32 v8, v45, v21
	v_dual_fmac_f32 v10, v36, v20 :: v_dual_fmac_f32 v3, v65, v21
	v_fmac_f32_e32 v11, v32, v20
	s_delay_alu instid0(VALU_DEP_3) | instskip(NEXT) | instid1(VALU_DEP_3)
	v_dual_fmac_f32 v9, v41, v21 :: v_dual_fmac_f32 v4, v60, v20
	v_fmac_f32_e32 v10, v37, v21
	s_delay_alu instid0(VALU_DEP_3) | instskip(NEXT) | instid1(VALU_DEP_3)
	v_fmac_f32_e32 v11, v33, v21
	v_fmac_f32_e32 v9, v42, v22
	s_delay_alu instid0(VALU_DEP_4) | instskip(SKIP_1) | instid1(VALU_DEP_4)
	v_dual_fmac_f32 v5, v56, v20 :: v_dual_fmac_f32 v4, v61, v21
	v_fmac_f32_e32 v12, v28, v20
	v_dual_fmac_f32 v6, v52, v20 :: v_dual_fmac_f32 v11, v34, v22
	v_fmac_f32_e32 v7, v48, v20
	s_delay_alu instid0(VALU_DEP_4) | instskip(NEXT) | instid1(VALU_DEP_4)
	v_fmac_f32_e32 v5, v57, v21
	v_dual_fmac_f32 v13, v24, v20 :: v_dual_fmac_f32 v12, v29, v21
	s_delay_alu instid0(VALU_DEP_4) | instskip(NEXT) | instid1(VALU_DEP_4)
	v_fmac_f32_e32 v6, v53, v21
	v_dual_fmac_f32 v7, v49, v21 :: v_dual_fmac_f32 v10, v38, v22
	v_fmac_f32_e32 v11, v35, v23
	s_delay_alu instid0(VALU_DEP_4) | instskip(SKIP_1) | instid1(VALU_DEP_4)
	v_dual_fmac_f32 v13, v25, v21 :: v_dual_fmac_f32 v12, v30, v22
	v_dual_fmac_f32 v8, v46, v22 :: v_dual_fmac_f32 v9, v43, v23
	v_fmac_f32_e32 v7, v50, v22
	s_delay_alu instid0(VALU_DEP_3)
	v_fmac_f32_e32 v13, v26, v22
	v_fmac_f32_e32 v6, v54, v22
	v_dual_fmac_f32 v5, v58, v22 :: v_dual_fmac_f32 v12, v31, v23
	v_fmac_f32_e32 v4, v62, v22
	v_dual_fmac_f32 v3, v66, v22 :: v_dual_fmac_f32 v10, v39, v23
	;; [unrolled: 2-line block ×3, first 2 shown]
	v_fmac_f32_e32 v13, v27, v23
	v_fmac_f32_e32 v7, v51, v23
	;; [unrolled: 1-line block ×8, first 2 shown]
	s_cbranch_scc0 .LBB12_1
; %bb.2:
	v_mbcnt_lo_u32_b32 v17, -1, 0
	v_lshrrev_b32_e32 v21, 5, v0
	s_delay_alu instid0(VALU_DEP_2) | instskip(SKIP_1) | instid1(VALU_DEP_2)
	v_xor_b32_e32 v14, 16, v17
	v_xor_b32_e32 v15, 8, v17
	v_cmp_gt_i32_e32 vcc_lo, 32, v14
	v_cndmask_b32_e32 v14, v17, v14, vcc_lo
	s_delay_alu instid0(VALU_DEP_3) | instskip(SKIP_1) | instid1(VALU_DEP_1)
	v_cmp_gt_i32_e32 vcc_lo, 32, v15
	v_cndmask_b32_e32 v15, v17, v15, vcc_lo
	v_lshlrev_b32_e32 v15, 2, v15
	s_delay_alu instid0(VALU_DEP_4) | instskip(SKIP_4) | instid1(VALU_DEP_1)
	v_lshlrev_b32_e32 v14, 2, v14
	ds_bpermute_b32 v16, v14, v13
	s_waitcnt lgkmcnt(0)
	v_add_f32_e32 v16, v13, v16
	v_xor_b32_e32 v13, 4, v17
	v_cmp_gt_i32_e32 vcc_lo, 32, v13
	v_cndmask_b32_e32 v13, v17, v13, vcc_lo
	s_delay_alu instid0(VALU_DEP_1)
	v_lshlrev_b32_e32 v13, 2, v13
	ds_bpermute_b32 v18, v15, v16
	s_waitcnt lgkmcnt(0)
	v_add_f32_e32 v18, v16, v18
	v_xor_b32_e32 v16, 2, v17
	ds_bpermute_b32 v19, v13, v18
	v_cmp_gt_i32_e32 vcc_lo, 32, v16
	s_waitcnt lgkmcnt(0)
	v_dual_cndmask_b32 v16, v17, v16 :: v_dual_add_f32 v19, v18, v19
	v_xor_b32_e32 v18, 1, v17
	s_delay_alu instid0(VALU_DEP_1) | instskip(NEXT) | instid1(VALU_DEP_3)
	v_cmp_gt_i32_e32 vcc_lo, 32, v18
	v_dual_cndmask_b32 v17, v17, v18 :: v_dual_lshlrev_b32 v16, 2, v16
	ds_bpermute_b32 v20, v16, v19
	v_lshlrev_b32_e32 v18, 2, v17
	v_and_b32_e32 v17, 31, v0
	s_delay_alu instid0(VALU_DEP_1)
	v_cmp_eq_u32_e32 vcc_lo, 0, v17
	v_lshlrev_b32_e32 v17, 2, v21
	s_waitcnt lgkmcnt(0)
	v_add_f32_e32 v19, v19, v20
	ds_bpermute_b32 v20, v18, v19
	s_and_saveexec_b32 s0, vcc_lo
	s_cbranch_execz .LBB12_4
; %bb.3:
	s_waitcnt lgkmcnt(0)
	v_add_f32_e32 v19, v19, v20
	ds_store_b32 v17, v19
.LBB12_4:
	s_or_b32 exec_lo, exec_lo, s0
	ds_bpermute_b32 v19, v14, v12
	s_waitcnt lgkmcnt(0)
	v_add_f32_e32 v12, v12, v19
	ds_bpermute_b32 v19, v15, v12
	s_waitcnt lgkmcnt(0)
	v_add_f32_e32 v12, v12, v19
	ds_bpermute_b32 v19, v13, v12
	s_waitcnt lgkmcnt(0)
	v_add_f32_e32 v12, v12, v19
	ds_bpermute_b32 v19, v16, v12
	s_waitcnt lgkmcnt(0)
	v_add_f32_e32 v12, v12, v19
	ds_bpermute_b32 v19, v18, v12
	s_and_saveexec_b32 s0, vcc_lo
	s_cbranch_execz .LBB12_6
; %bb.5:
	s_waitcnt lgkmcnt(0)
	v_add_f32_e32 v12, v12, v19
	ds_store_b32 v17, v12 offset:16
.LBB12_6:
	s_or_b32 exec_lo, exec_lo, s0
	ds_bpermute_b32 v12, v14, v11
	s_waitcnt lgkmcnt(0)
	v_add_f32_e32 v11, v11, v12
	ds_bpermute_b32 v12, v15, v11
	s_waitcnt lgkmcnt(0)
	v_add_f32_e32 v11, v11, v12
	ds_bpermute_b32 v12, v13, v11
	s_waitcnt lgkmcnt(0)
	v_add_f32_e32 v11, v11, v12
	ds_bpermute_b32 v12, v16, v11
	s_waitcnt lgkmcnt(0)
	v_add_f32_e32 v11, v11, v12
	ds_bpermute_b32 v12, v18, v11
	s_and_saveexec_b32 s0, vcc_lo
	s_cbranch_execz .LBB12_8
; %bb.7:
	s_waitcnt lgkmcnt(0)
	v_add_f32_e32 v11, v11, v12
	ds_store_b32 v17, v11 offset:32
.LBB12_8:
	;; [unrolled: 21-line block ×12, first 2 shown]
	s_or_b32 exec_lo, exec_lo, s0
	s_waitcnt lgkmcnt(0)
	s_barrier
	buffer_gl0_inv
	s_mov_b32 s0, exec_lo
	v_cmpx_eq_u32_e32 0, v0
	s_cbranch_execz .LBB12_30
; %bb.29:
	v_mov_b32_e32 v36, 0
	s_ashr_i32 s3, s2, 31
	ds_load_b128 v[0:3], v36
	ds_load_b128 v[4:7], v36 offset:16
	ds_load_b128 v[8:11], v36 offset:32
	;; [unrolled: 1-line block ×7, first 2 shown]
	s_lshl_b64 s[0:1], s[2:3], 2
	s_delay_alu instid0(SALU_CYCLE_1)
	s_add_u32 s0, s4, s0
	s_addc_u32 s1, s5, s1
	s_waitcnt lgkmcnt(4)
	v_add_f32_e32 v12, 0, v12
	v_add_f32_e32 v0, 0, v0
	s_waitcnt lgkmcnt(2)
	v_add_f32_e32 v20, 0, v20
	v_add_f32_e32 v4, 0, v4
	;; [unrolled: 3-line block ×3, first 2 shown]
	s_delay_alu instid0(VALU_DEP_3)
	v_dual_add_f32 v1, v4, v5 :: v_dual_add_f32 v8, 0, v8
	ds_load_b128 v[32:35], v36 offset:128
	v_add_f32_e32 v0, v0, v2
	v_dual_add_f32 v16, 0, v16 :: v_dual_add_f32 v1, v1, v6
	v_add_f32_e32 v4, v8, v9
	v_add_f32_e32 v9, v20, v21
	s_delay_alu instid0(VALU_DEP_4) | instskip(NEXT) | instid1(VALU_DEP_4)
	v_add_f32_e32 v21, v0, v3
	v_add_f32_e32 v8, v16, v17
	s_delay_alu instid0(VALU_DEP_4) | instskip(NEXT) | instid1(VALU_DEP_2)
	v_add_f32_e32 v2, v4, v10
	v_dual_add_f32 v17, v8, v18 :: v_dual_add_f32 v24, 0, v24
	v_dual_add_f32 v5, v12, v13 :: v_dual_add_f32 v18, v9, v22
	v_add_f32_e32 v22, v1, v7
	s_delay_alu instid0(VALU_DEP_3) | instskip(NEXT) | instid1(VALU_DEP_3)
	v_dual_add_f32 v17, v17, v19 :: v_dual_add_f32 v12, v24, v25
	v_add_f32_e32 v4, v5, v14
	v_dual_add_f32 v24, v2, v11 :: v_dual_mov_b32 v19, 0x1000
	v_add_f32_e32 v16, v28, v29
	s_delay_alu instid0(VALU_DEP_4) | instskip(NEXT) | instid1(VALU_DEP_4)
	v_add_f32_e32 v20, v12, v26
	v_add_f32_e32 v25, v4, v15
	ds_load_b128 v[0:3], v36 offset:144
	ds_load_b128 v[4:7], v36 offset:160
	;; [unrolled: 1-line block ×4, first 2 shown]
	v_add_f32_e32 v16, v16, v30
	v_add_f32_e32 v20, v20, v27
	s_delay_alu instid0(VALU_DEP_2)
	v_add_f32_e32 v16, v16, v31
	s_waitcnt lgkmcnt(3)
	v_add_f32_e32 v0, 0, v0
	s_waitcnt lgkmcnt(2)
	;; [unrolled: 2-line block ×4, first 2 shown]
	v_add_f32_e32 v12, 0, v12
	v_add_f32_e32 v0, v0, v1
	v_dual_add_f32 v1, v4, v5 :: v_dual_add_f32 v18, v18, v23
	s_delay_alu instid0(VALU_DEP_3)
	v_add_f32_e32 v5, v12, v13
	v_dual_add_f32 v23, 0, v32 :: v_dual_add_f32 v4, v8, v9
	s_clause 0x7
	global_store_b32 v36, v21, s[0:1]
	global_store_b32 v36, v22, s[0:1] offset:1024
	global_store_b32 v36, v24, s[0:1] offset:2048
	;; [unrolled: 1-line block ×3, first 2 shown]
	global_store_b32 v19, v17, s[0:1]
	global_store_b32 v19, v18, s[0:1] offset:1024
	global_store_b32 v19, v20, s[0:1] offset:2048
	;; [unrolled: 1-line block ×3, first 2 shown]
	v_add_f32_e32 v0, v0, v2
	v_add_f32_e32 v1, v1, v6
	;; [unrolled: 1-line block ×5, first 2 shown]
	v_dual_add_f32 v0, v0, v3 :: v_dual_mov_b32 v5, 0x2000
	v_add_f32_e32 v1, v1, v7
	s_delay_alu instid0(VALU_DEP_4) | instskip(NEXT) | instid1(VALU_DEP_4)
	v_add_f32_e32 v3, v4, v15
	v_add_f32_e32 v16, v16, v34
	;; [unrolled: 1-line block ×3, first 2 shown]
	v_mov_b32_e32 v4, 0x3000
	s_delay_alu instid0(VALU_DEP_3)
	v_add_f32_e32 v8, v16, v35
	s_clause 0x4
	global_store_b32 v5, v8, s[0:1]
	global_store_b32 v5, v0, s[0:1] offset:1024
	global_store_b32 v5, v1, s[0:1] offset:2048
	;; [unrolled: 1-line block ×3, first 2 shown]
	global_store_b32 v4, v3, s[0:1]
.LBB12_30:
	s_nop 0
	s_sendmsg sendmsg(MSG_DEALLOC_VGPRS)
	s_endpgm
	.section	.rodata,"a",@progbits
	.p2align	6, 0x0
	.amdhsa_kernel _Z23fp32_router_gemm_kernelIfLi128ELi13ELi256ELi3072EEvPfPKT_PKf
		.amdhsa_group_segment_fixed_size 208
		.amdhsa_private_segment_fixed_size 0
		.amdhsa_kernarg_size 24
		.amdhsa_user_sgpr_count 15
		.amdhsa_user_sgpr_dispatch_ptr 0
		.amdhsa_user_sgpr_queue_ptr 0
		.amdhsa_user_sgpr_kernarg_segment_ptr 1
		.amdhsa_user_sgpr_dispatch_id 0
		.amdhsa_user_sgpr_private_segment_size 0
		.amdhsa_wavefront_size32 1
		.amdhsa_uses_dynamic_stack 0
		.amdhsa_enable_private_segment 0
		.amdhsa_system_sgpr_workgroup_id_x 1
		.amdhsa_system_sgpr_workgroup_id_y 0
		.amdhsa_system_sgpr_workgroup_id_z 0
		.amdhsa_system_sgpr_workgroup_info 0
		.amdhsa_system_vgpr_workitem_id 0
		.amdhsa_next_free_vgpr 76
		.amdhsa_next_free_sgpr 16
		.amdhsa_reserve_vcc 1
		.amdhsa_float_round_mode_32 0
		.amdhsa_float_round_mode_16_64 0
		.amdhsa_float_denorm_mode_32 3
		.amdhsa_float_denorm_mode_16_64 3
		.amdhsa_dx10_clamp 1
		.amdhsa_ieee_mode 1
		.amdhsa_fp16_overflow 0
		.amdhsa_workgroup_processor_mode 1
		.amdhsa_memory_ordered 1
		.amdhsa_forward_progress 0
		.amdhsa_shared_vgpr_count 0
		.amdhsa_exception_fp_ieee_invalid_op 0
		.amdhsa_exception_fp_denorm_src 0
		.amdhsa_exception_fp_ieee_div_zero 0
		.amdhsa_exception_fp_ieee_overflow 0
		.amdhsa_exception_fp_ieee_underflow 0
		.amdhsa_exception_fp_ieee_inexact 0
		.amdhsa_exception_int_div_zero 0
	.end_amdhsa_kernel
	.section	.text._Z23fp32_router_gemm_kernelIfLi128ELi13ELi256ELi3072EEvPfPKT_PKf,"axG",@progbits,_Z23fp32_router_gemm_kernelIfLi128ELi13ELi256ELi3072EEvPfPKT_PKf,comdat
.Lfunc_end12:
	.size	_Z23fp32_router_gemm_kernelIfLi128ELi13ELi256ELi3072EEvPfPKT_PKf, .Lfunc_end12-_Z23fp32_router_gemm_kernelIfLi128ELi13ELi256ELi3072EEvPfPKT_PKf
                                        ; -- End function
	.section	.AMDGPU.csdata,"",@progbits
; Kernel info:
; codeLenInByte = 2840
; NumSgprs: 18
; NumVgprs: 76
; ScratchSize: 0
; MemoryBound: 0
; FloatMode: 240
; IeeeMode: 1
; LDSByteSize: 208 bytes/workgroup (compile time only)
; SGPRBlocks: 2
; VGPRBlocks: 9
; NumSGPRsForWavesPerEU: 18
; NumVGPRsForWavesPerEU: 76
; Occupancy: 16
; WaveLimiterHint : 1
; COMPUTE_PGM_RSRC2:SCRATCH_EN: 0
; COMPUTE_PGM_RSRC2:USER_SGPR: 15
; COMPUTE_PGM_RSRC2:TRAP_HANDLER: 0
; COMPUTE_PGM_RSRC2:TGID_X_EN: 1
; COMPUTE_PGM_RSRC2:TGID_Y_EN: 0
; COMPUTE_PGM_RSRC2:TGID_Z_EN: 0
; COMPUTE_PGM_RSRC2:TIDIG_COMP_CNT: 0
	.section	.text._Z23fp32_router_gemm_kernelIfLi128ELi14ELi256ELi3072EEvPfPKT_PKf,"axG",@progbits,_Z23fp32_router_gemm_kernelIfLi128ELi14ELi256ELi3072EEvPfPKT_PKf,comdat
	.protected	_Z23fp32_router_gemm_kernelIfLi128ELi14ELi256ELi3072EEvPfPKT_PKf ; -- Begin function _Z23fp32_router_gemm_kernelIfLi128ELi14ELi256ELi3072EEvPfPKT_PKf
	.globl	_Z23fp32_router_gemm_kernelIfLi128ELi14ELi256ELi3072EEvPfPKT_PKf
	.p2align	8
	.type	_Z23fp32_router_gemm_kernelIfLi128ELi14ELi256ELi3072EEvPfPKT_PKf,@function
_Z23fp32_router_gemm_kernelIfLi128ELi14ELi256ELi3072EEvPfPKT_PKf: ; @_Z23fp32_router_gemm_kernelIfLi128ELi14ELi256ELi3072EEvPfPKT_PKf
; %bb.0:
	s_clause 0x1
	s_load_b128 s[4:7], s[0:1], 0x0
	s_load_b64 s[0:1], s[0:1], 0x10
	v_dual_mov_b32 v14, 0 :: v_dual_lshlrev_b32 v15, 2, v0
	s_mul_i32 s8, s15, 0xc00
	v_dual_mov_b32 v13, 0 :: v_dual_mov_b32 v12, 0
	s_ashr_i32 s9, s8, 31
	s_delay_alu instid0(VALU_DEP_2)
	v_or_b32_e32 v16, 0x200, v15
	v_or_b32_e32 v17, 0x400, v15
	;; [unrolled: 1-line block ×5, first 2 shown]
	s_lshl_b64 s[8:9], s[8:9], 2
	v_dual_mov_b32 v11, 0 :: v_dual_mov_b32 v10, 0
	v_dual_mov_b32 v9, 0 :: v_dual_mov_b32 v8, 0
	;; [unrolled: 1-line block ×5, first 2 shown]
	v_mov_b32_e32 v1, 0
	s_waitcnt lgkmcnt(0)
	s_add_u32 s0, s0, s8
	s_mov_b32 s2, s15
	s_addc_u32 s1, s1, s9
	s_mov_b64 s[8:9], 0
.LBB13_1:                               ; =>This Inner Loop Header: Depth=1
	s_delay_alu instid0(SALU_CYCLE_1)
	s_cmp_eq_u32 s8, 1
	s_cselect_b32 vcc_lo, -1, 0
	s_cmp_eq_u32 s8, 2
	v_cndmask_b32_e32 v21, v15, v16, vcc_lo
	s_cselect_b32 vcc_lo, -1, 0
	s_cmp_eq_u32 s8, 3
	s_delay_alu instid0(VALU_DEP_1) | instskip(SKIP_2) | instid1(VALU_DEP_1)
	v_cndmask_b32_e32 v21, v21, v17, vcc_lo
	s_cselect_b32 vcc_lo, -1, 0
	s_cmp_eq_u32 s8, 4
	v_cndmask_b32_e32 v21, v21, v18, vcc_lo
	s_cselect_b32 vcc_lo, -1, 0
	s_cmp_eq_u32 s8, 5
	s_delay_alu instid0(VALU_DEP_1)
	v_cndmask_b32_e32 v21, v21, v19, vcc_lo
	s_cselect_b32 vcc_lo, -1, 0
	s_add_u32 s8, s8, 1
	s_addc_u32 s9, s9, 0
	s_cmp_eq_u32 s8, 6
	v_cndmask_b32_e32 v21, v21, v20, vcc_lo
	s_delay_alu instid0(VALU_DEP_1) | instskip(NEXT) | instid1(VALU_DEP_1)
	v_lshlrev_b32_e32 v25, 2, v21
	v_add_co_u32 v31, s3, s6, v25
	s_delay_alu instid0(VALU_DEP_1)
	v_add_co_ci_u32_e64 v32, null, s7, 0, s3
	s_clause 0x1
	global_load_b128 v[21:24], v25, s[0:1]
	global_load_b128 v[25:28], v25, s[6:7]
	v_add_co_u32 v29, vcc_lo, 0x3000, v31
	v_add_co_ci_u32_e32 v30, vcc_lo, 0, v32, vcc_lo
	v_add_co_u32 v33, vcc_lo, 0x6000, v31
	v_add_co_ci_u32_e32 v34, vcc_lo, 0, v32, vcc_lo
	;; [unrolled: 2-line block ×13, first 2 shown]
	s_clause 0xc
	global_load_b128 v[29:32], v[29:30], off
	global_load_b128 v[33:36], v[33:34], off
	;; [unrolled: 1-line block ×13, first 2 shown]
	s_waitcnt vmcnt(2)
	v_fmac_f32_e32 v3, v69, v21
	v_fmac_f32_e32 v4, v65, v21
	s_waitcnt vmcnt(0)
	v_fmac_f32_e32 v1, v77, v21
	s_delay_alu instid0(VALU_DEP_3) | instskip(NEXT) | instid1(VALU_DEP_3)
	v_dual_fmac_f32 v2, v73, v21 :: v_dual_fmac_f32 v3, v70, v22
	v_dual_fmac_f32 v11, v37, v21 :: v_dual_fmac_f32 v4, v66, v22
	s_delay_alu instid0(VALU_DEP_3) | instskip(NEXT) | instid1(VALU_DEP_3)
	v_fmac_f32_e32 v1, v78, v22
	v_dual_fmac_f32 v9, v45, v21 :: v_dual_fmac_f32 v2, v74, v22
	v_fmac_f32_e32 v10, v41, v21
	s_delay_alu instid0(VALU_DEP_4) | instskip(NEXT) | instid1(VALU_DEP_3)
	v_dual_fmac_f32 v12, v33, v21 :: v_dual_fmac_f32 v11, v38, v22
	v_fmac_f32_e32 v9, v46, v22
	s_delay_alu instid0(VALU_DEP_3) | instskip(NEXT) | instid1(VALU_DEP_3)
	v_dual_fmac_f32 v1, v79, v23 :: v_dual_fmac_f32 v10, v42, v22
	v_dual_fmac_f32 v5, v61, v21 :: v_dual_fmac_f32 v12, v34, v22
	v_fmac_f32_e32 v7, v53, v21
	s_delay_alu instid0(VALU_DEP_3) | instskip(NEXT) | instid1(VALU_DEP_3)
	v_dual_fmac_f32 v1, v80, v24 :: v_dual_fmac_f32 v10, v43, v23
	v_dual_fmac_f32 v6, v57, v21 :: v_dual_fmac_f32 v5, v62, v22
	s_delay_alu instid0(VALU_DEP_4) | instskip(NEXT) | instid1(VALU_DEP_4)
	v_dual_fmac_f32 v13, v29, v21 :: v_dual_fmac_f32 v12, v35, v23
	v_dual_fmac_f32 v8, v49, v21 :: v_dual_fmac_f32 v7, v54, v22
	s_delay_alu instid0(VALU_DEP_3) | instskip(NEXT) | instid1(VALU_DEP_3)
	v_fmac_f32_e32 v6, v58, v22
	v_dual_fmac_f32 v14, v25, v21 :: v_dual_fmac_f32 v13, v30, v22
	s_delay_alu instid0(VALU_DEP_3) | instskip(SKIP_1) | instid1(VALU_DEP_3)
	v_dual_fmac_f32 v8, v50, v22 :: v_dual_fmac_f32 v11, v39, v23
	v_fmac_f32_e32 v10, v44, v24
	v_dual_fmac_f32 v14, v26, v22 :: v_dual_fmac_f32 v13, v31, v23
	v_fmac_f32_e32 v12, v36, v24
	s_delay_alu instid0(VALU_DEP_4) | instskip(SKIP_1) | instid1(VALU_DEP_4)
	v_fmac_f32_e32 v8, v51, v23
	v_fmac_f32_e32 v9, v47, v23
	;; [unrolled: 1-line block ×5, first 2 shown]
	v_dual_fmac_f32 v4, v67, v23 :: v_dual_fmac_f32 v13, v32, v24
	v_fmac_f32_e32 v5, v63, v23
	v_dual_fmac_f32 v2, v75, v23 :: v_dual_fmac_f32 v11, v40, v24
	v_dual_fmac_f32 v3, v71, v23 :: v_dual_fmac_f32 v14, v28, v24
	v_fmac_f32_e32 v8, v52, v24
	s_delay_alu instid0(VALU_DEP_3)
	v_fmac_f32_e32 v2, v76, v24
	v_fmac_f32_e32 v9, v48, v24
	;; [unrolled: 1-line block ×7, first 2 shown]
	s_cbranch_scc0 .LBB13_1
; %bb.2:
	v_mbcnt_lo_u32_b32 v18, -1, 0
	v_lshrrev_b32_e32 v22, 5, v0
	s_delay_alu instid0(VALU_DEP_2) | instskip(SKIP_1) | instid1(VALU_DEP_2)
	v_xor_b32_e32 v15, 16, v18
	v_xor_b32_e32 v16, 8, v18
	v_cmp_gt_i32_e32 vcc_lo, 32, v15
	v_cndmask_b32_e32 v15, v18, v15, vcc_lo
	s_delay_alu instid0(VALU_DEP_3) | instskip(SKIP_1) | instid1(VALU_DEP_1)
	v_cmp_gt_i32_e32 vcc_lo, 32, v16
	v_cndmask_b32_e32 v16, v18, v16, vcc_lo
	v_lshlrev_b32_e32 v16, 2, v16
	s_delay_alu instid0(VALU_DEP_4) | instskip(SKIP_4) | instid1(VALU_DEP_1)
	v_lshlrev_b32_e32 v15, 2, v15
	ds_bpermute_b32 v17, v15, v14
	s_waitcnt lgkmcnt(0)
	v_add_f32_e32 v17, v14, v17
	v_xor_b32_e32 v14, 4, v18
	v_cmp_gt_i32_e32 vcc_lo, 32, v14
	v_cndmask_b32_e32 v14, v18, v14, vcc_lo
	s_delay_alu instid0(VALU_DEP_1)
	v_lshlrev_b32_e32 v14, 2, v14
	ds_bpermute_b32 v19, v16, v17
	s_waitcnt lgkmcnt(0)
	v_add_f32_e32 v19, v17, v19
	v_xor_b32_e32 v17, 2, v18
	ds_bpermute_b32 v20, v14, v19
	v_cmp_gt_i32_e32 vcc_lo, 32, v17
	s_waitcnt lgkmcnt(0)
	v_dual_cndmask_b32 v17, v18, v17 :: v_dual_add_f32 v20, v19, v20
	v_xor_b32_e32 v19, 1, v18
	s_delay_alu instid0(VALU_DEP_1) | instskip(NEXT) | instid1(VALU_DEP_3)
	v_cmp_gt_i32_e32 vcc_lo, 32, v19
	v_dual_cndmask_b32 v18, v18, v19 :: v_dual_lshlrev_b32 v17, 2, v17
	ds_bpermute_b32 v21, v17, v20
	v_lshlrev_b32_e32 v19, 2, v18
	v_and_b32_e32 v18, 31, v0
	s_delay_alu instid0(VALU_DEP_1)
	v_cmp_eq_u32_e32 vcc_lo, 0, v18
	v_lshlrev_b32_e32 v18, 2, v22
	s_waitcnt lgkmcnt(0)
	v_add_f32_e32 v20, v20, v21
	ds_bpermute_b32 v21, v19, v20
	s_and_saveexec_b32 s0, vcc_lo
	s_cbranch_execz .LBB13_4
; %bb.3:
	s_waitcnt lgkmcnt(0)
	v_add_f32_e32 v20, v20, v21
	ds_store_b32 v18, v20
.LBB13_4:
	s_or_b32 exec_lo, exec_lo, s0
	ds_bpermute_b32 v20, v15, v13
	s_waitcnt lgkmcnt(0)
	v_add_f32_e32 v13, v13, v20
	ds_bpermute_b32 v20, v16, v13
	s_waitcnt lgkmcnt(0)
	v_add_f32_e32 v13, v13, v20
	ds_bpermute_b32 v20, v14, v13
	s_waitcnt lgkmcnt(0)
	v_add_f32_e32 v13, v13, v20
	ds_bpermute_b32 v20, v17, v13
	s_waitcnt lgkmcnt(0)
	v_add_f32_e32 v13, v13, v20
	ds_bpermute_b32 v20, v19, v13
	s_and_saveexec_b32 s0, vcc_lo
	s_cbranch_execz .LBB13_6
; %bb.5:
	s_waitcnt lgkmcnt(0)
	v_add_f32_e32 v13, v13, v20
	ds_store_b32 v18, v13 offset:16
.LBB13_6:
	s_or_b32 exec_lo, exec_lo, s0
	ds_bpermute_b32 v13, v15, v12
	s_waitcnt lgkmcnt(0)
	v_add_f32_e32 v12, v12, v13
	ds_bpermute_b32 v13, v16, v12
	s_waitcnt lgkmcnt(0)
	v_add_f32_e32 v12, v12, v13
	ds_bpermute_b32 v13, v14, v12
	s_waitcnt lgkmcnt(0)
	v_add_f32_e32 v12, v12, v13
	ds_bpermute_b32 v13, v17, v12
	s_waitcnt lgkmcnt(0)
	v_add_f32_e32 v12, v12, v13
	ds_bpermute_b32 v13, v19, v12
	s_and_saveexec_b32 s0, vcc_lo
	s_cbranch_execz .LBB13_8
; %bb.7:
	s_waitcnt lgkmcnt(0)
	v_add_f32_e32 v12, v12, v13
	ds_store_b32 v18, v12 offset:32
.LBB13_8:
	;; [unrolled: 21-line block ×13, first 2 shown]
	s_or_b32 exec_lo, exec_lo, s0
	s_waitcnt lgkmcnt(0)
	s_barrier
	buffer_gl0_inv
	s_mov_b32 s0, exec_lo
	v_cmpx_eq_u32_e32 0, v0
	s_cbranch_execz .LBB13_32
; %bb.31:
	v_dual_mov_b32 v36, 0 :: v_dual_mov_b32 v37, 0x1000
	s_ashr_i32 s3, s2, 31
	ds_load_b128 v[0:3], v36
	ds_load_b128 v[4:7], v36 offset:16
	ds_load_b128 v[8:11], v36 offset:32
	ds_load_b128 v[12:15], v36 offset:48
	ds_load_b128 v[16:19], v36 offset:64
	ds_load_b128 v[20:23], v36 offset:80
	ds_load_b128 v[24:27], v36 offset:96
	ds_load_b128 v[28:31], v36 offset:112
	ds_load_b128 v[32:35], v36 offset:128
	s_lshl_b64 s[0:1], s[2:3], 2
	s_delay_alu instid0(SALU_CYCLE_1)
	s_add_u32 s0, s4, s0
	s_addc_u32 s1, s5, s1
	s_waitcnt lgkmcnt(3)
	v_add_f32_e32 v20, 0, v20
	v_add_f32_e32 v8, 0, v8
	s_waitcnt lgkmcnt(1)
	v_add_f32_e32 v28, 0, v28
	v_add_f32_e32 v12, 0, v12
	;; [unrolled: 1-line block ×4, first 2 shown]
	s_delay_alu instid0(VALU_DEP_1) | instskip(NEXT) | instid1(VALU_DEP_3)
	v_add_f32_e32 v0, v0, v1
	v_dual_add_f32 v1, v4, v5 :: v_dual_add_f32 v16, 0, v16
	v_add_f32_e32 v4, v8, v9
	v_add_f32_e32 v5, v12, v13
	s_delay_alu instid0(VALU_DEP_4) | instskip(NEXT) | instid1(VALU_DEP_4)
	v_add_f32_e32 v0, v0, v2
	v_dual_add_f32 v1, v1, v6 :: v_dual_add_f32 v24, 0, v24
	v_add_f32_e32 v8, v16, v17
	v_add_f32_e32 v2, v4, v10
	;; [unrolled: 1-line block ×3, first 2 shown]
	s_delay_alu instid0(VALU_DEP_3)
	v_add_f32_e32 v5, v8, v18
	v_add_f32_e32 v9, v20, v21
	;; [unrolled: 1-line block ×3, first 2 shown]
	v_dual_add_f32 v21, v1, v7 :: v_dual_add_f32 v12, v24, v25
	v_add_f32_e32 v24, v2, v11
	v_add_f32_e32 v25, v4, v15
	;; [unrolled: 1-line block ×3, first 2 shown]
	ds_load_b128 v[0:3], v36 offset:144
	s_waitcnt lgkmcnt(1)
	v_add_f32_e32 v16, 0, v32
	v_add_f32_e32 v28, v5, v19
	;; [unrolled: 1-line block ×5, first 2 shown]
	ds_load_b128 v[4:7], v36 offset:160
	ds_load_b128 v[8:11], v36 offset:176
	;; [unrolled: 1-line block ×3, first 2 shown]
	v_add_f32_e32 v30, v16, v33
	ds_load_b128 v[16:19], v36 offset:208
	s_waitcnt lgkmcnt(4)
	v_add_f32_e32 v0, 0, v0
	s_waitcnt lgkmcnt(3)
	v_add_f32_e32 v4, 0, v4
	s_waitcnt lgkmcnt(2)
	v_add_f32_e32 v8, 0, v8
	v_add_f32_e32 v0, v0, v1
	s_waitcnt lgkmcnt(1)
	v_add_f32_e32 v12, 0, v12
	s_waitcnt lgkmcnt(0)
	v_dual_add_f32 v1, 0, v16 :: v_dual_add_f32 v4, v4, v5
	v_add_f32_e32 v5, v8, v9
	v_add_f32_e32 v0, v0, v2
	;; [unrolled: 1-line block ×3, first 2 shown]
	s_delay_alu instid0(VALU_DEP_4) | instskip(NEXT) | instid1(VALU_DEP_4)
	v_dual_add_f32 v1, v1, v17 :: v_dual_add_f32 v2, v4, v6
	v_add_f32_e32 v4, v5, v10
	s_delay_alu instid0(VALU_DEP_4) | instskip(NEXT) | instid1(VALU_DEP_4)
	v_add_f32_e32 v0, v0, v3
	v_add_f32_e32 v5, v8, v14
	s_delay_alu instid0(VALU_DEP_4) | instskip(NEXT) | instid1(VALU_DEP_4)
	v_dual_add_f32 v1, v1, v18 :: v_dual_add_f32 v2, v2, v7
	v_add_f32_e32 v3, v4, v11
	v_add_f32_e32 v22, v22, v23
	s_delay_alu instid0(VALU_DEP_4) | instskip(NEXT) | instid1(VALU_DEP_4)
	v_add_f32_e32 v4, v5, v15
	v_add_f32_e32 v1, v1, v19
	;; [unrolled: 1-line block ×3, first 2 shown]
	v_dual_add_f32 v27, v30, v34 :: v_dual_add_f32 v26, v29, v31
	v_mov_b32_e32 v5, 0x3000
	s_clause 0x7
	global_store_b32 v36, v20, s[0:1]
	global_store_b32 v36, v21, s[0:1] offset:1024
	global_store_b32 v36, v24, s[0:1] offset:2048
	;; [unrolled: 1-line block ×3, first 2 shown]
	global_store_b32 v37, v28, s[0:1]
	global_store_b32 v37, v22, s[0:1] offset:1024
	global_store_b32 v37, v23, s[0:1] offset:2048
	;; [unrolled: 1-line block ×3, first 2 shown]
	v_dual_mov_b32 v21, 0x2000 :: v_dual_add_f32 v20, v27, v35
	s_clause 0x5
	global_store_b32 v21, v20, s[0:1]
	global_store_b32 v21, v0, s[0:1] offset:1024
	global_store_b32 v21, v2, s[0:1] offset:2048
	;; [unrolled: 1-line block ×3, first 2 shown]
	global_store_b32 v5, v4, s[0:1]
	global_store_b32 v5, v1, s[0:1] offset:1024
.LBB13_32:
	s_nop 0
	s_sendmsg sendmsg(MSG_DEALLOC_VGPRS)
	s_endpgm
	.section	.rodata,"a",@progbits
	.p2align	6, 0x0
	.amdhsa_kernel _Z23fp32_router_gemm_kernelIfLi128ELi14ELi256ELi3072EEvPfPKT_PKf
		.amdhsa_group_segment_fixed_size 224
		.amdhsa_private_segment_fixed_size 0
		.amdhsa_kernarg_size 24
		.amdhsa_user_sgpr_count 15
		.amdhsa_user_sgpr_dispatch_ptr 0
		.amdhsa_user_sgpr_queue_ptr 0
		.amdhsa_user_sgpr_kernarg_segment_ptr 1
		.amdhsa_user_sgpr_dispatch_id 0
		.amdhsa_user_sgpr_private_segment_size 0
		.amdhsa_wavefront_size32 1
		.amdhsa_uses_dynamic_stack 0
		.amdhsa_enable_private_segment 0
		.amdhsa_system_sgpr_workgroup_id_x 1
		.amdhsa_system_sgpr_workgroup_id_y 0
		.amdhsa_system_sgpr_workgroup_id_z 0
		.amdhsa_system_sgpr_workgroup_info 0
		.amdhsa_system_vgpr_workitem_id 0
		.amdhsa_next_free_vgpr 81
		.amdhsa_next_free_sgpr 16
		.amdhsa_reserve_vcc 1
		.amdhsa_float_round_mode_32 0
		.amdhsa_float_round_mode_16_64 0
		.amdhsa_float_denorm_mode_32 3
		.amdhsa_float_denorm_mode_16_64 3
		.amdhsa_dx10_clamp 1
		.amdhsa_ieee_mode 1
		.amdhsa_fp16_overflow 0
		.amdhsa_workgroup_processor_mode 1
		.amdhsa_memory_ordered 1
		.amdhsa_forward_progress 0
		.amdhsa_shared_vgpr_count 0
		.amdhsa_exception_fp_ieee_invalid_op 0
		.amdhsa_exception_fp_denorm_src 0
		.amdhsa_exception_fp_ieee_div_zero 0
		.amdhsa_exception_fp_ieee_overflow 0
		.amdhsa_exception_fp_ieee_underflow 0
		.amdhsa_exception_fp_ieee_inexact 0
		.amdhsa_exception_int_div_zero 0
	.end_amdhsa_kernel
	.section	.text._Z23fp32_router_gemm_kernelIfLi128ELi14ELi256ELi3072EEvPfPKT_PKf,"axG",@progbits,_Z23fp32_router_gemm_kernelIfLi128ELi14ELi256ELi3072EEvPfPKT_PKf,comdat
.Lfunc_end13:
	.size	_Z23fp32_router_gemm_kernelIfLi128ELi14ELi256ELi3072EEvPfPKT_PKf, .Lfunc_end13-_Z23fp32_router_gemm_kernelIfLi128ELi14ELi256ELi3072EEvPfPKT_PKf
                                        ; -- End function
	.section	.AMDGPU.csdata,"",@progbits
; Kernel info:
; codeLenInByte = 3016
; NumSgprs: 18
; NumVgprs: 81
; ScratchSize: 0
; MemoryBound: 0
; FloatMode: 240
; IeeeMode: 1
; LDSByteSize: 224 bytes/workgroup (compile time only)
; SGPRBlocks: 2
; VGPRBlocks: 10
; NumSGPRsForWavesPerEU: 18
; NumVGPRsForWavesPerEU: 81
; Occupancy: 16
; WaveLimiterHint : 1
; COMPUTE_PGM_RSRC2:SCRATCH_EN: 0
; COMPUTE_PGM_RSRC2:USER_SGPR: 15
; COMPUTE_PGM_RSRC2:TRAP_HANDLER: 0
; COMPUTE_PGM_RSRC2:TGID_X_EN: 1
; COMPUTE_PGM_RSRC2:TGID_Y_EN: 0
; COMPUTE_PGM_RSRC2:TGID_Z_EN: 0
; COMPUTE_PGM_RSRC2:TIDIG_COMP_CNT: 0
	.section	.text._Z23fp32_router_gemm_kernelIfLi128ELi15ELi256ELi3072EEvPfPKT_PKf,"axG",@progbits,_Z23fp32_router_gemm_kernelIfLi128ELi15ELi256ELi3072EEvPfPKT_PKf,comdat
	.protected	_Z23fp32_router_gemm_kernelIfLi128ELi15ELi256ELi3072EEvPfPKT_PKf ; -- Begin function _Z23fp32_router_gemm_kernelIfLi128ELi15ELi256ELi3072EEvPfPKT_PKf
	.globl	_Z23fp32_router_gemm_kernelIfLi128ELi15ELi256ELi3072EEvPfPKT_PKf
	.p2align	8
	.type	_Z23fp32_router_gemm_kernelIfLi128ELi15ELi256ELi3072EEvPfPKT_PKf,@function
_Z23fp32_router_gemm_kernelIfLi128ELi15ELi256ELi3072EEvPfPKT_PKf: ; @_Z23fp32_router_gemm_kernelIfLi128ELi15ELi256ELi3072EEvPfPKT_PKf
; %bb.0:
	s_clause 0x1
	s_load_b128 s[4:7], s[0:1], 0x0
	s_load_b64 s[0:1], s[0:1], 0x10
	v_dual_mov_b32 v15, 0 :: v_dual_lshlrev_b32 v16, 2, v0
	s_mul_i32 s8, s15, 0xc00
	v_dual_mov_b32 v14, 0 :: v_dual_mov_b32 v13, 0
	s_ashr_i32 s9, s8, 31
	s_delay_alu instid0(VALU_DEP_2)
	v_or_b32_e32 v17, 0x200, v16
	v_or_b32_e32 v18, 0x400, v16
	;; [unrolled: 1-line block ×5, first 2 shown]
	s_lshl_b64 s[8:9], s[8:9], 2
	v_dual_mov_b32 v12, 0 :: v_dual_mov_b32 v11, 0
	v_dual_mov_b32 v10, 0 :: v_dual_mov_b32 v9, 0
	;; [unrolled: 1-line block ×6, first 2 shown]
	s_waitcnt lgkmcnt(0)
	s_add_u32 s0, s0, s8
	s_mov_b32 s2, s15
	s_addc_u32 s1, s1, s9
	s_mov_b64 s[8:9], 0
.LBB14_1:                               ; =>This Inner Loop Header: Depth=1
	s_delay_alu instid0(SALU_CYCLE_1)
	s_cmp_eq_u32 s8, 1
	s_cselect_b32 vcc_lo, -1, 0
	s_cmp_eq_u32 s8, 2
	v_cndmask_b32_e32 v22, v16, v17, vcc_lo
	s_cselect_b32 vcc_lo, -1, 0
	s_cmp_eq_u32 s8, 3
	s_delay_alu instid0(VALU_DEP_1) | instskip(SKIP_2) | instid1(VALU_DEP_1)
	v_cndmask_b32_e32 v22, v22, v18, vcc_lo
	s_cselect_b32 vcc_lo, -1, 0
	s_cmp_eq_u32 s8, 4
	v_cndmask_b32_e32 v22, v22, v19, vcc_lo
	s_cselect_b32 vcc_lo, -1, 0
	s_cmp_eq_u32 s8, 5
	s_delay_alu instid0(VALU_DEP_1)
	v_cndmask_b32_e32 v22, v22, v20, vcc_lo
	s_cselect_b32 vcc_lo, -1, 0
	s_add_u32 s8, s8, 1
	s_addc_u32 s9, s9, 0
	s_cmp_eq_u32 s8, 6
	v_cndmask_b32_e32 v22, v22, v21, vcc_lo
	s_delay_alu instid0(VALU_DEP_1) | instskip(NEXT) | instid1(VALU_DEP_1)
	v_lshlrev_b32_e32 v26, 2, v22
	v_add_co_u32 v32, s3, s6, v26
	s_delay_alu instid0(VALU_DEP_1)
	v_add_co_ci_u32_e64 v33, null, s7, 0, s3
	s_clause 0x1
	global_load_b128 v[22:25], v26, s[0:1]
	global_load_b128 v[26:29], v26, s[6:7]
	v_add_co_u32 v30, vcc_lo, 0x3000, v32
	v_add_co_ci_u32_e32 v31, vcc_lo, 0, v33, vcc_lo
	v_add_co_u32 v34, vcc_lo, 0x6000, v32
	v_add_co_ci_u32_e32 v35, vcc_lo, 0, v33, vcc_lo
	;; [unrolled: 2-line block ×14, first 2 shown]
	s_clause 0xd
	global_load_b128 v[30:33], v[30:31], off
	global_load_b128 v[34:37], v[34:35], off
	;; [unrolled: 1-line block ×14, first 2 shown]
	s_waitcnt vmcnt(0)
	v_fmac_f32_e32 v1, v82, v22
	s_delay_alu instid0(VALU_DEP_1) | instskip(NEXT) | instid1(VALU_DEP_1)
	v_dual_fmac_f32 v8, v54, v22 :: v_dual_fmac_f32 v1, v83, v23
	v_dual_fmac_f32 v9, v50, v22 :: v_dual_fmac_f32 v8, v55, v23
	s_delay_alu instid0(VALU_DEP_1) | instskip(NEXT) | instid1(VALU_DEP_1)
	v_dual_fmac_f32 v9, v51, v23 :: v_dual_fmac_f32 v2, v78, v22
	v_fmac_f32_e32 v9, v52, v24
	s_delay_alu instid0(VALU_DEP_2) | instskip(SKIP_1) | instid1(VALU_DEP_3)
	v_dual_fmac_f32 v3, v74, v22 :: v_dual_fmac_f32 v2, v79, v23
	v_fmac_f32_e32 v10, v46, v22
	v_dual_fmac_f32 v8, v56, v24 :: v_dual_fmac_f32 v9, v53, v25
	s_delay_alu instid0(VALU_DEP_3) | instskip(NEXT) | instid1(VALU_DEP_3)
	v_fmac_f32_e32 v3, v75, v23
	v_dual_fmac_f32 v11, v42, v22 :: v_dual_fmac_f32 v10, v47, v23
	s_delay_alu instid0(VALU_DEP_3) | instskip(NEXT) | instid1(VALU_DEP_2)
	v_dual_fmac_f32 v1, v84, v24 :: v_dual_fmac_f32 v8, v57, v25
	v_dual_fmac_f32 v11, v43, v23 :: v_dual_fmac_f32 v4, v70, v22
	s_delay_alu instid0(VALU_DEP_2) | instskip(NEXT) | instid1(VALU_DEP_2)
	v_fmac_f32_e32 v1, v85, v25
	v_fmac_f32_e32 v11, v44, v24
	s_delay_alu instid0(VALU_DEP_3) | instskip(SKIP_1) | instid1(VALU_DEP_3)
	v_dual_fmac_f32 v5, v66, v22 :: v_dual_fmac_f32 v4, v71, v23
	v_fmac_f32_e32 v12, v38, v22
	v_dual_fmac_f32 v10, v48, v24 :: v_dual_fmac_f32 v11, v45, v25
	s_delay_alu instid0(VALU_DEP_3) | instskip(NEXT) | instid1(VALU_DEP_3)
	v_fmac_f32_e32 v5, v67, v23
	v_dual_fmac_f32 v13, v34, v22 :: v_dual_fmac_f32 v12, v39, v23
	s_delay_alu instid0(VALU_DEP_3) | instskip(NEXT) | instid1(VALU_DEP_2)
	v_dual_fmac_f32 v3, v76, v24 :: v_dual_fmac_f32 v10, v49, v25
	v_dual_fmac_f32 v2, v80, v24 :: v_dual_fmac_f32 v13, v35, v23
	s_delay_alu instid0(VALU_DEP_2) | instskip(NEXT) | instid1(VALU_DEP_2)
	v_dual_fmac_f32 v6, v62, v22 :: v_dual_fmac_f32 v3, v77, v25
	v_dual_fmac_f32 v2, v81, v25 :: v_dual_fmac_f32 v13, v36, v24
	s_delay_alu instid0(VALU_DEP_2) | instskip(SKIP_1) | instid1(VALU_DEP_3)
	v_dual_fmac_f32 v7, v58, v22 :: v_dual_fmac_f32 v6, v63, v23
	v_fmac_f32_e32 v14, v30, v22
	v_dual_fmac_f32 v12, v40, v24 :: v_dual_fmac_f32 v13, v37, v25
	s_delay_alu instid0(VALU_DEP_3) | instskip(NEXT) | instid1(VALU_DEP_3)
	v_fmac_f32_e32 v7, v59, v23
	v_dual_fmac_f32 v15, v26, v22 :: v_dual_fmac_f32 v14, v31, v23
	s_delay_alu instid0(VALU_DEP_3) | instskip(NEXT) | instid1(VALU_DEP_2)
	v_dual_fmac_f32 v5, v68, v24 :: v_dual_fmac_f32 v12, v41, v25
	v_dual_fmac_f32 v4, v72, v24 :: v_dual_fmac_f32 v15, v27, v23
	s_delay_alu instid0(VALU_DEP_2) | instskip(NEXT) | instid1(VALU_DEP_2)
	v_dual_fmac_f32 v14, v32, v24 :: v_dual_fmac_f32 v5, v69, v25
	v_dual_fmac_f32 v7, v60, v24 :: v_dual_fmac_f32 v4, v73, v25
	s_delay_alu instid0(VALU_DEP_2) | instskip(NEXT) | instid1(VALU_DEP_2)
	v_dual_fmac_f32 v15, v28, v24 :: v_dual_fmac_f32 v14, v33, v25
	v_dual_fmac_f32 v6, v64, v24 :: v_dual_fmac_f32 v7, v61, v25
	s_delay_alu instid0(VALU_DEP_2) | instskip(NEXT) | instid1(VALU_DEP_2)
	v_fmac_f32_e32 v15, v29, v25
	v_fmac_f32_e32 v6, v65, v25
	s_cbranch_scc0 .LBB14_1
; %bb.2:
	v_mbcnt_lo_u32_b32 v19, -1, 0
	v_lshrrev_b32_e32 v23, 5, v0
	s_delay_alu instid0(VALU_DEP_2) | instskip(SKIP_1) | instid1(VALU_DEP_2)
	v_xor_b32_e32 v16, 16, v19
	v_xor_b32_e32 v17, 8, v19
	v_cmp_gt_i32_e32 vcc_lo, 32, v16
	v_cndmask_b32_e32 v16, v19, v16, vcc_lo
	s_delay_alu instid0(VALU_DEP_3) | instskip(SKIP_1) | instid1(VALU_DEP_1)
	v_cmp_gt_i32_e32 vcc_lo, 32, v17
	v_cndmask_b32_e32 v17, v19, v17, vcc_lo
	v_lshlrev_b32_e32 v17, 2, v17
	s_delay_alu instid0(VALU_DEP_4) | instskip(SKIP_4) | instid1(VALU_DEP_1)
	v_lshlrev_b32_e32 v16, 2, v16
	ds_bpermute_b32 v18, v16, v15
	s_waitcnt lgkmcnt(0)
	v_add_f32_e32 v18, v15, v18
	v_xor_b32_e32 v15, 4, v19
	v_cmp_gt_i32_e32 vcc_lo, 32, v15
	v_cndmask_b32_e32 v15, v19, v15, vcc_lo
	s_delay_alu instid0(VALU_DEP_1)
	v_lshlrev_b32_e32 v15, 2, v15
	ds_bpermute_b32 v20, v17, v18
	s_waitcnt lgkmcnt(0)
	v_add_f32_e32 v20, v18, v20
	v_xor_b32_e32 v18, 2, v19
	ds_bpermute_b32 v21, v15, v20
	v_cmp_gt_i32_e32 vcc_lo, 32, v18
	s_waitcnt lgkmcnt(0)
	v_dual_cndmask_b32 v18, v19, v18 :: v_dual_add_f32 v21, v20, v21
	v_xor_b32_e32 v20, 1, v19
	s_delay_alu instid0(VALU_DEP_1) | instskip(NEXT) | instid1(VALU_DEP_3)
	v_cmp_gt_i32_e32 vcc_lo, 32, v20
	v_dual_cndmask_b32 v19, v19, v20 :: v_dual_lshlrev_b32 v18, 2, v18
	ds_bpermute_b32 v22, v18, v21
	v_lshlrev_b32_e32 v20, 2, v19
	v_and_b32_e32 v19, 31, v0
	s_delay_alu instid0(VALU_DEP_1)
	v_cmp_eq_u32_e32 vcc_lo, 0, v19
	v_lshlrev_b32_e32 v19, 2, v23
	s_waitcnt lgkmcnt(0)
	v_add_f32_e32 v21, v21, v22
	ds_bpermute_b32 v22, v20, v21
	s_and_saveexec_b32 s0, vcc_lo
	s_cbranch_execz .LBB14_4
; %bb.3:
	s_waitcnt lgkmcnt(0)
	v_add_f32_e32 v21, v21, v22
	ds_store_b32 v19, v21
.LBB14_4:
	s_or_b32 exec_lo, exec_lo, s0
	ds_bpermute_b32 v21, v16, v14
	s_waitcnt lgkmcnt(0)
	v_add_f32_e32 v14, v14, v21
	ds_bpermute_b32 v21, v17, v14
	s_waitcnt lgkmcnt(0)
	v_add_f32_e32 v14, v14, v21
	ds_bpermute_b32 v21, v15, v14
	s_waitcnt lgkmcnt(0)
	v_add_f32_e32 v14, v14, v21
	ds_bpermute_b32 v21, v18, v14
	s_waitcnt lgkmcnt(0)
	v_add_f32_e32 v14, v14, v21
	ds_bpermute_b32 v21, v20, v14
	s_and_saveexec_b32 s0, vcc_lo
	s_cbranch_execz .LBB14_6
; %bb.5:
	s_waitcnt lgkmcnt(0)
	v_add_f32_e32 v14, v14, v21
	ds_store_b32 v19, v14 offset:16
.LBB14_6:
	s_or_b32 exec_lo, exec_lo, s0
	ds_bpermute_b32 v14, v16, v13
	s_waitcnt lgkmcnt(0)
	v_add_f32_e32 v13, v13, v14
	ds_bpermute_b32 v14, v17, v13
	s_waitcnt lgkmcnt(0)
	v_add_f32_e32 v13, v13, v14
	ds_bpermute_b32 v14, v15, v13
	s_waitcnt lgkmcnt(0)
	v_add_f32_e32 v13, v13, v14
	ds_bpermute_b32 v14, v18, v13
	s_waitcnt lgkmcnt(0)
	v_add_f32_e32 v13, v13, v14
	ds_bpermute_b32 v14, v20, v13
	s_and_saveexec_b32 s0, vcc_lo
	s_cbranch_execz .LBB14_8
; %bb.7:
	s_waitcnt lgkmcnt(0)
	v_add_f32_e32 v13, v13, v14
	ds_store_b32 v19, v13 offset:32
.LBB14_8:
	;; [unrolled: 21-line block ×14, first 2 shown]
	s_or_b32 exec_lo, exec_lo, s0
	s_waitcnt lgkmcnt(0)
	s_barrier
	buffer_gl0_inv
	s_mov_b32 s0, exec_lo
	v_cmpx_eq_u32_e32 0, v0
	s_cbranch_execz .LBB14_34
; %bb.33:
	v_mov_b32_e32 v40, 0
	s_ashr_i32 s3, s2, 31
	ds_load_b128 v[0:3], v40
	ds_load_b128 v[4:7], v40 offset:16
	ds_load_b128 v[8:11], v40 offset:32
	;; [unrolled: 1-line block ×7, first 2 shown]
	s_lshl_b64 s[0:1], s[2:3], 2
	s_delay_alu instid0(SALU_CYCLE_1)
	s_add_u32 s0, s4, s0
	s_addc_u32 s1, s5, s1
	s_waitcnt lgkmcnt(4)
	v_add_f32_e32 v12, 0, v12
	v_add_f32_e32 v0, 0, v0
	s_waitcnt lgkmcnt(2)
	v_add_f32_e32 v20, 0, v20
	v_add_f32_e32 v4, 0, v4
	s_delay_alu instid0(VALU_DEP_3) | instskip(NEXT) | instid1(VALU_DEP_2)
	v_add_f32_e32 v0, v0, v1
	v_dual_add_f32 v1, v4, v5 :: v_dual_add_f32 v8, 0, v8
	ds_load_b128 v[32:35], v40 offset:128
	ds_load_b128 v[36:39], v40 offset:144
	v_add_f32_e32 v5, v12, v13
	v_add_f32_e32 v0, v0, v2
	v_dual_add_f32 v1, v1, v6 :: v_dual_add_f32 v4, v8, v9
	v_dual_add_f32 v9, v20, v21 :: v_dual_add_f32 v16, 0, v16
	s_delay_alu instid0(VALU_DEP_3) | instskip(NEXT) | instid1(VALU_DEP_3)
	v_add_f32_e32 v20, v0, v3
	v_dual_add_f32 v21, v1, v7 :: v_dual_add_f32 v2, v4, v10
	s_delay_alu instid0(VALU_DEP_3)
	v_add_f32_e32 v6, v9, v22
	s_waitcnt lgkmcnt(3)
	v_add_f32_e32 v24, 0, v24
	v_add_f32_e32 v8, v16, v17
	;; [unrolled: 1-line block ×4, first 2 shown]
	s_delay_alu instid0(VALU_DEP_4) | instskip(NEXT) | instid1(VALU_DEP_4)
	v_dual_add_f32 v23, v6, v23 :: v_dual_add_f32 v12, v24, v25
	v_add_f32_e32 v5, v8, v18
	s_delay_alu instid0(VALU_DEP_4) | instskip(NEXT) | instid1(VALU_DEP_3)
	v_add_f32_e32 v24, v4, v15
	v_add_f32_e32 v0, v12, v26
	s_waitcnt lgkmcnt(2)
	s_delay_alu instid0(VALU_DEP_3)
	v_dual_add_f32 v28, 0, v28 :: v_dual_add_f32 v25, v5, v19
	s_waitcnt lgkmcnt(1)
	v_add_f32_e32 v5, 0, v32
	s_waitcnt lgkmcnt(0)
	v_dual_add_f32 v12, 0, v36 :: v_dual_add_f32 v27, v0, v27
	v_add_f32_e32 v4, v28, v29
	ds_load_b128 v[0:3], v40 offset:160
	v_dual_add_f32 v29, v5, v33 :: v_dual_mov_b32 v26, 0x1000
	v_add_f32_e32 v28, v4, v30
	ds_load_b128 v[4:7], v40 offset:176
	ds_load_b128 v[8:11], v40 offset:192
	v_add_f32_e32 v30, v12, v37
	ds_load_b128 v[12:15], v40 offset:208
	ds_load_b128 v[16:19], v40 offset:224
	v_dual_add_f32 v29, v29, v34 :: v_dual_add_f32 v28, v28, v31
	v_add_f32_e32 v30, v30, v38
	s_waitcnt lgkmcnt(4)
	v_add_f32_e32 v0, 0, v0
	s_waitcnt lgkmcnt(3)
	;; [unrolled: 2-line block ×4, first 2 shown]
	v_dual_add_f32 v0, v0, v1 :: v_dual_add_f32 v1, 0, v12
	s_waitcnt lgkmcnt(0)
	v_add_f32_e32 v12, 0, v16
	v_add_f32_e32 v4, v4, v5
	;; [unrolled: 1-line block ×3, first 2 shown]
	v_dual_add_f32 v0, v0, v2 :: v_dual_add_f32 v1, v1, v13
	s_delay_alu instid0(VALU_DEP_4) | instskip(NEXT) | instid1(VALU_DEP_4)
	v_add_f32_e32 v2, v12, v17
	v_add_f32_e32 v4, v4, v6
	s_delay_alu instid0(VALU_DEP_3) | instskip(NEXT) | instid1(VALU_DEP_4)
	v_dual_add_f32 v5, v5, v10 :: v_dual_add_f32 v0, v0, v3
	v_add_f32_e32 v1, v1, v14
	s_delay_alu instid0(VALU_DEP_3) | instskip(NEXT) | instid1(VALU_DEP_3)
	v_dual_add_f32 v2, v2, v18 :: v_dual_add_f32 v3, v4, v7
	v_dual_add_f32 v4, v5, v11 :: v_dual_mov_b32 v5, 0x3000
	s_clause 0x7
	global_store_b32 v40, v20, s[0:1]
	global_store_b32 v40, v21, s[0:1] offset:1024
	global_store_b32 v40, v22, s[0:1] offset:2048
	;; [unrolled: 1-line block ×3, first 2 shown]
	global_store_b32 v26, v25, s[0:1]
	global_store_b32 v26, v23, s[0:1] offset:1024
	global_store_b32 v26, v27, s[0:1] offset:2048
	;; [unrolled: 1-line block ×3, first 2 shown]
	v_dual_add_f32 v20, v29, v35 :: v_dual_mov_b32 v21, 0x2000
	v_add_f32_e32 v22, v30, v39
	v_add_f32_e32 v1, v1, v15
	;; [unrolled: 1-line block ×3, first 2 shown]
	s_clause 0x6
	global_store_b32 v21, v20, s[0:1]
	global_store_b32 v21, v22, s[0:1] offset:1024
	global_store_b32 v21, v0, s[0:1] offset:2048
	;; [unrolled: 1-line block ×3, first 2 shown]
	global_store_b32 v5, v4, s[0:1]
	global_store_b32 v5, v1, s[0:1] offset:1024
	global_store_b32 v5, v2, s[0:1] offset:2048
.LBB14_34:
	s_nop 0
	s_sendmsg sendmsg(MSG_DEALLOC_VGPRS)
	s_endpgm
	.section	.rodata,"a",@progbits
	.p2align	6, 0x0
	.amdhsa_kernel _Z23fp32_router_gemm_kernelIfLi128ELi15ELi256ELi3072EEvPfPKT_PKf
		.amdhsa_group_segment_fixed_size 240
		.amdhsa_private_segment_fixed_size 0
		.amdhsa_kernarg_size 24
		.amdhsa_user_sgpr_count 15
		.amdhsa_user_sgpr_dispatch_ptr 0
		.amdhsa_user_sgpr_queue_ptr 0
		.amdhsa_user_sgpr_kernarg_segment_ptr 1
		.amdhsa_user_sgpr_dispatch_id 0
		.amdhsa_user_sgpr_private_segment_size 0
		.amdhsa_wavefront_size32 1
		.amdhsa_uses_dynamic_stack 0
		.amdhsa_enable_private_segment 0
		.amdhsa_system_sgpr_workgroup_id_x 1
		.amdhsa_system_sgpr_workgroup_id_y 0
		.amdhsa_system_sgpr_workgroup_id_z 0
		.amdhsa_system_sgpr_workgroup_info 0
		.amdhsa_system_vgpr_workitem_id 0
		.amdhsa_next_free_vgpr 86
		.amdhsa_next_free_sgpr 16
		.amdhsa_reserve_vcc 1
		.amdhsa_float_round_mode_32 0
		.amdhsa_float_round_mode_16_64 0
		.amdhsa_float_denorm_mode_32 3
		.amdhsa_float_denorm_mode_16_64 3
		.amdhsa_dx10_clamp 1
		.amdhsa_ieee_mode 1
		.amdhsa_fp16_overflow 0
		.amdhsa_workgroup_processor_mode 1
		.amdhsa_memory_ordered 1
		.amdhsa_forward_progress 0
		.amdhsa_shared_vgpr_count 0
		.amdhsa_exception_fp_ieee_invalid_op 0
		.amdhsa_exception_fp_denorm_src 0
		.amdhsa_exception_fp_ieee_div_zero 0
		.amdhsa_exception_fp_ieee_overflow 0
		.amdhsa_exception_fp_ieee_underflow 0
		.amdhsa_exception_fp_ieee_inexact 0
		.amdhsa_exception_int_div_zero 0
	.end_amdhsa_kernel
	.section	.text._Z23fp32_router_gemm_kernelIfLi128ELi15ELi256ELi3072EEvPfPKT_PKf,"axG",@progbits,_Z23fp32_router_gemm_kernelIfLi128ELi15ELi256ELi3072EEvPfPKT_PKf,comdat
.Lfunc_end14:
	.size	_Z23fp32_router_gemm_kernelIfLi128ELi15ELi256ELi3072EEvPfPKT_PKf, .Lfunc_end14-_Z23fp32_router_gemm_kernelIfLi128ELi15ELi256ELi3072EEvPfPKT_PKf
                                        ; -- End function
	.section	.AMDGPU.csdata,"",@progbits
; Kernel info:
; codeLenInByte = 3232
; NumSgprs: 18
; NumVgprs: 86
; ScratchSize: 0
; MemoryBound: 0
; FloatMode: 240
; IeeeMode: 1
; LDSByteSize: 240 bytes/workgroup (compile time only)
; SGPRBlocks: 2
; VGPRBlocks: 10
; NumSGPRsForWavesPerEU: 18
; NumVGPRsForWavesPerEU: 86
; Occupancy: 16
; WaveLimiterHint : 1
; COMPUTE_PGM_RSRC2:SCRATCH_EN: 0
; COMPUTE_PGM_RSRC2:USER_SGPR: 15
; COMPUTE_PGM_RSRC2:TRAP_HANDLER: 0
; COMPUTE_PGM_RSRC2:TGID_X_EN: 1
; COMPUTE_PGM_RSRC2:TGID_Y_EN: 0
; COMPUTE_PGM_RSRC2:TGID_Z_EN: 0
; COMPUTE_PGM_RSRC2:TIDIG_COMP_CNT: 0
	.section	.text._Z23fp32_router_gemm_kernelIfLi128ELi16ELi256ELi3072EEvPfPKT_PKf,"axG",@progbits,_Z23fp32_router_gemm_kernelIfLi128ELi16ELi256ELi3072EEvPfPKT_PKf,comdat
	.protected	_Z23fp32_router_gemm_kernelIfLi128ELi16ELi256ELi3072EEvPfPKT_PKf ; -- Begin function _Z23fp32_router_gemm_kernelIfLi128ELi16ELi256ELi3072EEvPfPKT_PKf
	.globl	_Z23fp32_router_gemm_kernelIfLi128ELi16ELi256ELi3072EEvPfPKT_PKf
	.p2align	8
	.type	_Z23fp32_router_gemm_kernelIfLi128ELi16ELi256ELi3072EEvPfPKT_PKf,@function
_Z23fp32_router_gemm_kernelIfLi128ELi16ELi256ELi3072EEvPfPKT_PKf: ; @_Z23fp32_router_gemm_kernelIfLi128ELi16ELi256ELi3072EEvPfPKT_PKf
; %bb.0:
	s_clause 0x1
	s_load_b128 s[4:7], s[0:1], 0x0
	s_load_b64 s[0:1], s[0:1], 0x10
	v_dual_mov_b32 v16, 0 :: v_dual_lshlrev_b32 v17, 2, v0
	s_mul_i32 s8, s15, 0xc00
	v_dual_mov_b32 v15, 0 :: v_dual_mov_b32 v14, 0
	s_ashr_i32 s9, s8, 31
	s_delay_alu instid0(VALU_DEP_2)
	v_or_b32_e32 v18, 0x200, v17
	v_or_b32_e32 v19, 0x400, v17
	;; [unrolled: 1-line block ×5, first 2 shown]
	s_lshl_b64 s[8:9], s[8:9], 2
	v_dual_mov_b32 v13, 0 :: v_dual_mov_b32 v12, 0
	v_dual_mov_b32 v11, 0 :: v_dual_mov_b32 v10, 0
	;; [unrolled: 1-line block ×6, first 2 shown]
	v_mov_b32_e32 v1, 0
	s_waitcnt lgkmcnt(0)
	s_add_u32 s0, s0, s8
	s_mov_b32 s2, s15
	s_addc_u32 s1, s1, s9
	s_mov_b64 s[8:9], 0
.LBB15_1:                               ; =>This Inner Loop Header: Depth=1
	s_delay_alu instid0(SALU_CYCLE_1)
	s_cmp_eq_u32 s8, 1
	s_cselect_b32 vcc_lo, -1, 0
	s_cmp_eq_u32 s8, 2
	v_cndmask_b32_e32 v23, v17, v18, vcc_lo
	s_cselect_b32 vcc_lo, -1, 0
	s_cmp_eq_u32 s8, 3
	s_delay_alu instid0(VALU_DEP_1) | instskip(SKIP_2) | instid1(VALU_DEP_1)
	v_cndmask_b32_e32 v23, v23, v19, vcc_lo
	s_cselect_b32 vcc_lo, -1, 0
	s_cmp_eq_u32 s8, 4
	v_cndmask_b32_e32 v23, v23, v20, vcc_lo
	s_cselect_b32 vcc_lo, -1, 0
	s_cmp_eq_u32 s8, 5
	s_delay_alu instid0(VALU_DEP_1)
	v_cndmask_b32_e32 v23, v23, v21, vcc_lo
	s_cselect_b32 vcc_lo, -1, 0
	s_add_u32 s8, s8, 1
	s_addc_u32 s9, s9, 0
	s_cmp_eq_u32 s8, 6
	v_cndmask_b32_e32 v23, v23, v22, vcc_lo
	s_delay_alu instid0(VALU_DEP_1) | instskip(NEXT) | instid1(VALU_DEP_1)
	v_lshlrev_b32_e32 v27, 2, v23
	v_add_co_u32 v33, s3, s6, v27
	s_delay_alu instid0(VALU_DEP_1)
	v_add_co_ci_u32_e64 v34, null, s7, 0, s3
	s_clause 0x1
	global_load_b128 v[23:26], v27, s[0:1]
	global_load_b128 v[27:30], v27, s[6:7]
	v_add_co_u32 v31, vcc_lo, 0x3000, v33
	v_add_co_ci_u32_e32 v32, vcc_lo, 0, v34, vcc_lo
	v_add_co_u32 v35, vcc_lo, 0x6000, v33
	v_add_co_ci_u32_e32 v36, vcc_lo, 0, v34, vcc_lo
	;; [unrolled: 2-line block ×15, first 2 shown]
	s_clause 0xe
	global_load_b128 v[31:34], v[31:32], off
	global_load_b128 v[35:38], v[35:36], off
	global_load_b128 v[39:42], v[39:40], off
	global_load_b128 v[43:46], v[43:44], off
	global_load_b128 v[47:50], v[47:48], off
	global_load_b128 v[51:54], v[51:52], off
	global_load_b128 v[55:58], v[55:56], off
	global_load_b128 v[59:62], v[59:60], off
	global_load_b128 v[63:66], v[63:64], off
	global_load_b128 v[67:70], v[67:68], off
	global_load_b128 v[71:74], v[71:72], off
	global_load_b128 v[75:78], v[75:76], off
	global_load_b128 v[79:82], v[79:80], off
	global_load_b128 v[83:86], v[83:84], off
	global_load_b128 v[87:90], v[87:88], off
	s_waitcnt vmcnt(0)
	v_fmac_f32_e32 v1, v87, v23
	s_delay_alu instid0(VALU_DEP_1) | instskip(NEXT) | instid1(VALU_DEP_1)
	v_dual_fmac_f32 v2, v83, v23 :: v_dual_fmac_f32 v1, v88, v24
	v_dual_fmac_f32 v9, v55, v23 :: v_dual_fmac_f32 v2, v84, v24
	s_delay_alu instid0(VALU_DEP_2) | instskip(NEXT) | instid1(VALU_DEP_2)
	v_dual_fmac_f32 v10, v51, v23 :: v_dual_fmac_f32 v1, v89, v25
	v_fmac_f32_e32 v9, v56, v24
	s_delay_alu instid0(VALU_DEP_2) | instskip(NEXT) | instid1(VALU_DEP_1)
	v_dual_fmac_f32 v10, v52, v24 :: v_dual_fmac_f32 v3, v79, v23
	v_dual_fmac_f32 v1, v90, v26 :: v_dual_fmac_f32 v10, v53, v25
	s_delay_alu instid0(VALU_DEP_2) | instskip(NEXT) | instid1(VALU_DEP_2)
	v_dual_fmac_f32 v4, v75, v23 :: v_dual_fmac_f32 v3, v80, v24
	v_dual_fmac_f32 v11, v47, v23 :: v_dual_fmac_f32 v10, v54, v26
	s_delay_alu instid0(VALU_DEP_2) | instskip(NEXT) | instid1(VALU_DEP_2)
	v_fmac_f32_e32 v4, v76, v24
	v_dual_fmac_f32 v12, v43, v23 :: v_dual_fmac_f32 v11, v48, v24
	s_delay_alu instid0(VALU_DEP_1) | instskip(NEXT) | instid1(VALU_DEP_2)
	v_dual_fmac_f32 v12, v44, v24 :: v_dual_fmac_f32 v5, v71, v23
	v_fmac_f32_e32 v11, v49, v25
	v_fmac_f32_e32 v2, v85, v25
	s_delay_alu instid0(VALU_DEP_3) | instskip(NEXT) | instid1(VALU_DEP_4)
	v_fmac_f32_e32 v12, v45, v25
	v_dual_fmac_f32 v6, v67, v23 :: v_dual_fmac_f32 v5, v72, v24
	v_fmac_f32_e32 v13, v39, v23
	v_fmac_f32_e32 v11, v50, v26
	v_dual_fmac_f32 v3, v81, v25 :: v_dual_fmac_f32 v2, v86, v26
	s_delay_alu instid0(VALU_DEP_4) | instskip(NEXT) | instid1(VALU_DEP_4)
	v_fmac_f32_e32 v6, v68, v24
	v_dual_fmac_f32 v14, v35, v23 :: v_dual_fmac_f32 v13, v40, v24
	v_fmac_f32_e32 v12, v46, v26
	s_delay_alu instid0(VALU_DEP_2) | instskip(SKIP_1) | instid1(VALU_DEP_4)
	v_dual_fmac_f32 v3, v82, v26 :: v_dual_fmac_f32 v14, v36, v24
	v_fmac_f32_e32 v7, v63, v23
	v_fmac_f32_e32 v13, v41, v25
	;; [unrolled: 1-line block ×3, first 2 shown]
	s_delay_alu instid0(VALU_DEP_4) | instskip(NEXT) | instid1(VALU_DEP_4)
	v_fmac_f32_e32 v14, v37, v25
	v_dual_fmac_f32 v8, v59, v23 :: v_dual_fmac_f32 v7, v64, v24
	v_fmac_f32_e32 v15, v31, v23
	v_fmac_f32_e32 v13, v42, v26
	v_dual_fmac_f32 v5, v73, v25 :: v_dual_fmac_f32 v4, v78, v26
	s_delay_alu instid0(VALU_DEP_4) | instskip(NEXT) | instid1(VALU_DEP_4)
	v_fmac_f32_e32 v8, v60, v24
	v_dual_fmac_f32 v16, v27, v23 :: v_dual_fmac_f32 v15, v32, v24
	v_fmac_f32_e32 v14, v38, v26
	s_delay_alu instid0(VALU_DEP_3) | instskip(NEXT) | instid1(VALU_DEP_3)
	v_dual_fmac_f32 v5, v74, v26 :: v_dual_fmac_f32 v8, v61, v25
	v_dual_fmac_f32 v16, v28, v24 :: v_dual_fmac_f32 v15, v33, v25
	v_fmac_f32_e32 v9, v57, v25
	v_fmac_f32_e32 v6, v69, v25
	s_delay_alu instid0(VALU_DEP_4) | instskip(NEXT) | instid1(VALU_DEP_4)
	v_fmac_f32_e32 v8, v62, v26
	v_dual_fmac_f32 v16, v29, v25 :: v_dual_fmac_f32 v15, v34, v26
	s_delay_alu instid0(VALU_DEP_3) | instskip(SKIP_1) | instid1(VALU_DEP_3)
	v_dual_fmac_f32 v7, v65, v25 :: v_dual_fmac_f32 v6, v70, v26
	v_fmac_f32_e32 v9, v58, v26
	v_fmac_f32_e32 v16, v30, v26
	s_delay_alu instid0(VALU_DEP_3)
	v_fmac_f32_e32 v7, v66, v26
	s_cbranch_scc0 .LBB15_1
; %bb.2:
	v_mbcnt_lo_u32_b32 v20, -1, 0
	v_lshrrev_b32_e32 v24, 5, v0
	s_delay_alu instid0(VALU_DEP_2) | instskip(SKIP_1) | instid1(VALU_DEP_2)
	v_xor_b32_e32 v17, 16, v20
	v_xor_b32_e32 v18, 8, v20
	v_cmp_gt_i32_e32 vcc_lo, 32, v17
	v_cndmask_b32_e32 v17, v20, v17, vcc_lo
	s_delay_alu instid0(VALU_DEP_3) | instskip(SKIP_1) | instid1(VALU_DEP_1)
	v_cmp_gt_i32_e32 vcc_lo, 32, v18
	v_cndmask_b32_e32 v18, v20, v18, vcc_lo
	v_lshlrev_b32_e32 v18, 2, v18
	s_delay_alu instid0(VALU_DEP_4) | instskip(SKIP_4) | instid1(VALU_DEP_1)
	v_lshlrev_b32_e32 v17, 2, v17
	ds_bpermute_b32 v19, v17, v16
	s_waitcnt lgkmcnt(0)
	v_add_f32_e32 v19, v16, v19
	v_xor_b32_e32 v16, 4, v20
	v_cmp_gt_i32_e32 vcc_lo, 32, v16
	v_cndmask_b32_e32 v16, v20, v16, vcc_lo
	s_delay_alu instid0(VALU_DEP_1)
	v_lshlrev_b32_e32 v16, 2, v16
	ds_bpermute_b32 v21, v18, v19
	s_waitcnt lgkmcnt(0)
	v_add_f32_e32 v21, v19, v21
	v_xor_b32_e32 v19, 2, v20
	ds_bpermute_b32 v22, v16, v21
	v_cmp_gt_i32_e32 vcc_lo, 32, v19
	s_waitcnt lgkmcnt(0)
	v_dual_cndmask_b32 v19, v20, v19 :: v_dual_add_f32 v22, v21, v22
	v_xor_b32_e32 v21, 1, v20
	s_delay_alu instid0(VALU_DEP_1) | instskip(NEXT) | instid1(VALU_DEP_3)
	v_cmp_gt_i32_e32 vcc_lo, 32, v21
	v_dual_cndmask_b32 v20, v20, v21 :: v_dual_lshlrev_b32 v19, 2, v19
	ds_bpermute_b32 v23, v19, v22
	v_lshlrev_b32_e32 v21, 2, v20
	v_and_b32_e32 v20, 31, v0
	s_delay_alu instid0(VALU_DEP_1)
	v_cmp_eq_u32_e32 vcc_lo, 0, v20
	v_lshlrev_b32_e32 v20, 2, v24
	s_waitcnt lgkmcnt(0)
	v_add_f32_e32 v22, v22, v23
	ds_bpermute_b32 v23, v21, v22
	s_and_saveexec_b32 s0, vcc_lo
	s_cbranch_execz .LBB15_4
; %bb.3:
	s_waitcnt lgkmcnt(0)
	v_add_f32_e32 v22, v22, v23
	ds_store_b32 v20, v22
.LBB15_4:
	s_or_b32 exec_lo, exec_lo, s0
	ds_bpermute_b32 v22, v17, v15
	s_waitcnt lgkmcnt(0)
	v_add_f32_e32 v15, v15, v22
	ds_bpermute_b32 v22, v18, v15
	s_waitcnt lgkmcnt(0)
	v_add_f32_e32 v15, v15, v22
	ds_bpermute_b32 v22, v16, v15
	s_waitcnt lgkmcnt(0)
	v_add_f32_e32 v15, v15, v22
	ds_bpermute_b32 v22, v19, v15
	s_waitcnt lgkmcnt(0)
	v_add_f32_e32 v15, v15, v22
	ds_bpermute_b32 v22, v21, v15
	s_and_saveexec_b32 s0, vcc_lo
	s_cbranch_execz .LBB15_6
; %bb.5:
	s_waitcnt lgkmcnt(0)
	v_add_f32_e32 v15, v15, v22
	ds_store_b32 v20, v15 offset:16
.LBB15_6:
	s_or_b32 exec_lo, exec_lo, s0
	ds_bpermute_b32 v15, v17, v14
	s_waitcnt lgkmcnt(0)
	v_add_f32_e32 v14, v14, v15
	ds_bpermute_b32 v15, v18, v14
	s_waitcnt lgkmcnt(0)
	v_add_f32_e32 v14, v14, v15
	ds_bpermute_b32 v15, v16, v14
	s_waitcnt lgkmcnt(0)
	v_add_f32_e32 v14, v14, v15
	ds_bpermute_b32 v15, v19, v14
	s_waitcnt lgkmcnt(0)
	v_add_f32_e32 v14, v14, v15
	ds_bpermute_b32 v15, v21, v14
	s_and_saveexec_b32 s0, vcc_lo
	s_cbranch_execz .LBB15_8
; %bb.7:
	s_waitcnt lgkmcnt(0)
	v_add_f32_e32 v14, v14, v15
	ds_store_b32 v20, v14 offset:32
.LBB15_8:
	;; [unrolled: 21-line block ×15, first 2 shown]
	s_or_b32 exec_lo, exec_lo, s0
	s_waitcnt lgkmcnt(0)
	s_barrier
	buffer_gl0_inv
	s_mov_b32 s0, exec_lo
	v_cmpx_eq_u32_e32 0, v0
	s_cbranch_execz .LBB15_36
; %bb.35:
	v_mov_b32_e32 v44, 0
	s_ashr_i32 s3, s2, 31
	ds_load_b128 v[0:3], v44
	ds_load_b128 v[4:7], v44 offset:16
	ds_load_b128 v[8:11], v44 offset:32
	;; [unrolled: 1-line block ×7, first 2 shown]
	s_lshl_b64 s[0:1], s[2:3], 2
	s_delay_alu instid0(SALU_CYCLE_1)
	s_add_u32 s0, s4, s0
	s_addc_u32 s1, s5, s1
	s_waitcnt lgkmcnt(4)
	v_add_f32_e32 v12, 0, v12
	v_add_f32_e32 v0, 0, v0
	s_waitcnt lgkmcnt(2)
	v_add_f32_e32 v20, 0, v20
	v_add_f32_e32 v4, 0, v4
	;; [unrolled: 3-line block ×3, first 2 shown]
	s_delay_alu instid0(VALU_DEP_3)
	v_add_f32_e32 v1, v4, v5
	ds_load_b128 v[32:35], v44 offset:128
	ds_load_b128 v[36:39], v44 offset:144
	v_dual_add_f32 v8, 0, v8 :: v_dual_add_f32 v5, v12, v13
	ds_load_b128 v[40:43], v44 offset:160
	v_dual_add_f32 v1, v1, v6 :: v_dual_add_f32 v16, 0, v16
	v_add_f32_e32 v4, v8, v9
	v_add_f32_e32 v12, v24, v25
	s_waitcnt lgkmcnt(3)
	v_add_f32_e32 v28, 0, v28
	v_add_f32_e32 v0, v0, v2
	s_waitcnt lgkmcnt(1)
	v_add_f32_e32 v6, 0, v36
	v_add_f32_e32 v2, v4, v10
	;; [unrolled: 1-line block ×3, first 2 shown]
	s_delay_alu instid0(VALU_DEP_2) | instskip(NEXT) | instid1(VALU_DEP_2)
	v_add_f32_e32 v24, v2, v11
	v_add_f32_e32 v25, v4, v15
	;; [unrolled: 1-line block ×3, first 2 shown]
	v_dual_add_f32 v21, v1, v7 :: v_dual_add_f32 v8, v16, v17
	v_add_f32_e32 v1, v12, v26
	v_add_f32_e32 v2, v28, v29
	v_dual_add_f32 v20, v0, v3 :: v_dual_add_f32 v3, 0, v32
	s_delay_alu instid0(VALU_DEP_3) | instskip(NEXT) | instid1(VALU_DEP_3)
	v_dual_add_f32 v5, v8, v18 :: v_dual_add_f32 v26, v1, v27
	v_add_f32_e32 v4, v2, v30
	v_dual_add_f32 v0, v9, v22 :: v_dual_add_f32 v29, v6, v37
	s_delay_alu instid0(VALU_DEP_3) | instskip(SKIP_1) | instid1(VALU_DEP_4)
	v_add_f32_e32 v45, v5, v19
	v_add_f32_e32 v5, v3, v33
	;; [unrolled: 1-line block ×3, first 2 shown]
	s_delay_alu instid0(VALU_DEP_4)
	v_add_f32_e32 v23, v0, v23
	ds_load_b128 v[0:3], v44 offset:176
	s_waitcnt lgkmcnt(1)
	v_add_f32_e32 v8, 0, v40
	v_add_f32_e32 v28, v5, v34
	ds_load_b128 v[4:7], v44 offset:192
	v_add_f32_e32 v30, v8, v41
	ds_load_b128 v[8:11], v44 offset:208
	ds_load_b128 v[12:15], v44 offset:224
	;; [unrolled: 1-line block ×3, first 2 shown]
	s_waitcnt lgkmcnt(4)
	v_add_f32_e32 v0, 0, v0
	s_waitcnt lgkmcnt(3)
	v_add_f32_e32 v4, 0, v4
	s_waitcnt lgkmcnt(2)
	s_delay_alu instid0(VALU_DEP_2)
	v_dual_add_f32 v0, v0, v1 :: v_dual_add_f32 v1, 0, v8
	s_waitcnt lgkmcnt(1)
	v_add_f32_e32 v8, 0, v12
	s_waitcnt lgkmcnt(0)
	v_add_f32_e32 v12, 0, v16
	v_mov_b32_e32 v22, 0x1000
	v_add_f32_e32 v4, v4, v5
	v_dual_add_f32 v0, v0, v2 :: v_dual_add_f32 v1, v1, v9
	s_delay_alu instid0(VALU_DEP_4) | instskip(SKIP_1) | instid1(VALU_DEP_4)
	v_add_f32_e32 v5, v12, v17
	v_add_f32_e32 v2, v8, v13
	;; [unrolled: 1-line block ×3, first 2 shown]
	s_delay_alu instid0(VALU_DEP_4) | instskip(NEXT) | instid1(VALU_DEP_4)
	v_dual_add_f32 v0, v0, v3 :: v_dual_add_f32 v1, v1, v10
	v_add_f32_e32 v3, v5, v18
	v_mov_b32_e32 v5, 0x3000
	s_clause 0x7
	global_store_b32 v44, v20, s[0:1]
	global_store_b32 v44, v21, s[0:1] offset:1024
	global_store_b32 v44, v24, s[0:1] offset:2048
	;; [unrolled: 1-line block ×3, first 2 shown]
	global_store_b32 v22, v45, s[0:1]
	global_store_b32 v22, v23, s[0:1] offset:1024
	global_store_b32 v22, v26, s[0:1] offset:2048
	;; [unrolled: 1-line block ×3, first 2 shown]
	v_add_f32_e32 v20, v29, v38
	v_dual_add_f32 v21, v30, v42 :: v_dual_add_f32 v22, v28, v35
	v_dual_mov_b32 v23, 0x2000 :: v_dual_add_f32 v2, v2, v14
	s_delay_alu instid0(VALU_DEP_3) | instskip(NEXT) | instid1(VALU_DEP_3)
	v_add_f32_e32 v20, v20, v39
	v_add_f32_e32 v21, v21, v43
	;; [unrolled: 1-line block ×6, first 2 shown]
	s_clause 0x7
	global_store_b32 v23, v22, s[0:1]
	global_store_b32 v23, v20, s[0:1] offset:1024
	global_store_b32 v23, v21, s[0:1] offset:2048
	;; [unrolled: 1-line block ×3, first 2 shown]
	global_store_b32 v5, v4, s[0:1]
	global_store_b32 v5, v1, s[0:1] offset:1024
	global_store_b32 v5, v2, s[0:1] offset:2048
	;; [unrolled: 1-line block ×3, first 2 shown]
.LBB15_36:
	s_nop 0
	s_sendmsg sendmsg(MSG_DEALLOC_VGPRS)
	s_endpgm
	.section	.rodata,"a",@progbits
	.p2align	6, 0x0
	.amdhsa_kernel _Z23fp32_router_gemm_kernelIfLi128ELi16ELi256ELi3072EEvPfPKT_PKf
		.amdhsa_group_segment_fixed_size 256
		.amdhsa_private_segment_fixed_size 0
		.amdhsa_kernarg_size 24
		.amdhsa_user_sgpr_count 15
		.amdhsa_user_sgpr_dispatch_ptr 0
		.amdhsa_user_sgpr_queue_ptr 0
		.amdhsa_user_sgpr_kernarg_segment_ptr 1
		.amdhsa_user_sgpr_dispatch_id 0
		.amdhsa_user_sgpr_private_segment_size 0
		.amdhsa_wavefront_size32 1
		.amdhsa_uses_dynamic_stack 0
		.amdhsa_enable_private_segment 0
		.amdhsa_system_sgpr_workgroup_id_x 1
		.amdhsa_system_sgpr_workgroup_id_y 0
		.amdhsa_system_sgpr_workgroup_id_z 0
		.amdhsa_system_sgpr_workgroup_info 0
		.amdhsa_system_vgpr_workitem_id 0
		.amdhsa_next_free_vgpr 91
		.amdhsa_next_free_sgpr 16
		.amdhsa_reserve_vcc 1
		.amdhsa_float_round_mode_32 0
		.amdhsa_float_round_mode_16_64 0
		.amdhsa_float_denorm_mode_32 3
		.amdhsa_float_denorm_mode_16_64 3
		.amdhsa_dx10_clamp 1
		.amdhsa_ieee_mode 1
		.amdhsa_fp16_overflow 0
		.amdhsa_workgroup_processor_mode 1
		.amdhsa_memory_ordered 1
		.amdhsa_forward_progress 0
		.amdhsa_shared_vgpr_count 0
		.amdhsa_exception_fp_ieee_invalid_op 0
		.amdhsa_exception_fp_denorm_src 0
		.amdhsa_exception_fp_ieee_div_zero 0
		.amdhsa_exception_fp_ieee_overflow 0
		.amdhsa_exception_fp_ieee_underflow 0
		.amdhsa_exception_fp_ieee_inexact 0
		.amdhsa_exception_int_div_zero 0
	.end_amdhsa_kernel
	.section	.text._Z23fp32_router_gemm_kernelIfLi128ELi16ELi256ELi3072EEvPfPKT_PKf,"axG",@progbits,_Z23fp32_router_gemm_kernelIfLi128ELi16ELi256ELi3072EEvPfPKT_PKf,comdat
.Lfunc_end15:
	.size	_Z23fp32_router_gemm_kernelIfLi128ELi16ELi256ELi3072EEvPfPKT_PKf, .Lfunc_end15-_Z23fp32_router_gemm_kernelIfLi128ELi16ELi256ELi3072EEvPfPKT_PKf
                                        ; -- End function
	.section	.AMDGPU.csdata,"",@progbits
; Kernel info:
; codeLenInByte = 3404
; NumSgprs: 18
; NumVgprs: 91
; ScratchSize: 0
; MemoryBound: 0
; FloatMode: 240
; IeeeMode: 1
; LDSByteSize: 256 bytes/workgroup (compile time only)
; SGPRBlocks: 2
; VGPRBlocks: 11
; NumSGPRsForWavesPerEU: 18
; NumVGPRsForWavesPerEU: 91
; Occupancy: 16
; WaveLimiterHint : 1
; COMPUTE_PGM_RSRC2:SCRATCH_EN: 0
; COMPUTE_PGM_RSRC2:USER_SGPR: 15
; COMPUTE_PGM_RSRC2:TRAP_HANDLER: 0
; COMPUTE_PGM_RSRC2:TGID_X_EN: 1
; COMPUTE_PGM_RSRC2:TGID_Y_EN: 0
; COMPUTE_PGM_RSRC2:TGID_Z_EN: 0
; COMPUTE_PGM_RSRC2:TIDIG_COMP_CNT: 0
	.section	.text._Z23fp32_router_gemm_kernelIfLi128ELi17ELi256ELi3072EEvPfPKT_PKf,"axG",@progbits,_Z23fp32_router_gemm_kernelIfLi128ELi17ELi256ELi3072EEvPfPKT_PKf,comdat
	.protected	_Z23fp32_router_gemm_kernelIfLi128ELi17ELi256ELi3072EEvPfPKT_PKf ; -- Begin function _Z23fp32_router_gemm_kernelIfLi128ELi17ELi256ELi3072EEvPfPKT_PKf
	.globl	_Z23fp32_router_gemm_kernelIfLi128ELi17ELi256ELi3072EEvPfPKT_PKf
	.p2align	8
	.type	_Z23fp32_router_gemm_kernelIfLi128ELi17ELi256ELi3072EEvPfPKT_PKf,@function
_Z23fp32_router_gemm_kernelIfLi128ELi17ELi256ELi3072EEvPfPKT_PKf: ; @_Z23fp32_router_gemm_kernelIfLi128ELi17ELi256ELi3072EEvPfPKT_PKf
; %bb.0:
	s_clause 0x1
	s_load_b128 s[4:7], s[0:1], 0x0
	s_load_b64 s[0:1], s[0:1], 0x10
	v_dual_mov_b32 v17, 0 :: v_dual_lshlrev_b32 v18, 2, v0
	s_mul_i32 s8, s15, 0xc00
	v_dual_mov_b32 v16, 0 :: v_dual_mov_b32 v15, 0
	s_ashr_i32 s9, s8, 31
	s_delay_alu instid0(VALU_DEP_2)
	v_or_b32_e32 v19, 0x200, v18
	v_or_b32_e32 v20, 0x400, v18
	;; [unrolled: 1-line block ×5, first 2 shown]
	s_lshl_b64 s[8:9], s[8:9], 2
	v_dual_mov_b32 v14, 0 :: v_dual_mov_b32 v13, 0
	v_dual_mov_b32 v12, 0 :: v_dual_mov_b32 v11, 0
	;; [unrolled: 1-line block ×7, first 2 shown]
	s_waitcnt lgkmcnt(0)
	s_add_u32 s0, s0, s8
	s_mov_b32 s2, s15
	s_addc_u32 s1, s1, s9
	s_mov_b64 s[8:9], 0
.LBB16_1:                               ; =>This Inner Loop Header: Depth=1
	s_delay_alu instid0(SALU_CYCLE_1)
	s_cmp_eq_u32 s8, 1
	s_cselect_b32 vcc_lo, -1, 0
	s_cmp_eq_u32 s8, 2
	v_cndmask_b32_e32 v24, v18, v19, vcc_lo
	s_cselect_b32 vcc_lo, -1, 0
	s_cmp_eq_u32 s8, 3
	s_delay_alu instid0(VALU_DEP_1) | instskip(SKIP_2) | instid1(VALU_DEP_1)
	v_cndmask_b32_e32 v24, v24, v20, vcc_lo
	s_cselect_b32 vcc_lo, -1, 0
	s_cmp_eq_u32 s8, 4
	v_cndmask_b32_e32 v24, v24, v21, vcc_lo
	s_cselect_b32 vcc_lo, -1, 0
	s_cmp_eq_u32 s8, 5
	s_delay_alu instid0(VALU_DEP_1)
	v_cndmask_b32_e32 v24, v24, v22, vcc_lo
	s_cselect_b32 vcc_lo, -1, 0
	s_add_u32 s8, s8, 1
	s_addc_u32 s9, s9, 0
	s_cmp_eq_u32 s8, 6
	v_cndmask_b32_e32 v24, v24, v23, vcc_lo
	s_delay_alu instid0(VALU_DEP_1) | instskip(SKIP_4) | instid1(VALU_DEP_1)
	v_lshlrev_b32_e32 v32, 2, v24
	s_clause 0x1
	global_load_b128 v[24:27], v32, s[0:1]
	global_load_b128 v[28:31], v32, s[6:7]
	v_add_co_u32 v34, s3, s6, v32
	v_add_co_ci_u32_e64 v35, null, s7, 0, s3
	s_delay_alu instid0(VALU_DEP_2) | instskip(NEXT) | instid1(VALU_DEP_2)
	v_add_co_u32 v32, vcc_lo, 0x3000, v34
	v_add_co_ci_u32_e32 v33, vcc_lo, 0, v35, vcc_lo
	v_add_co_u32 v36, vcc_lo, 0x6000, v34
	v_add_co_ci_u32_e32 v37, vcc_lo, 0, v35, vcc_lo
	;; [unrolled: 2-line block ×16, first 2 shown]
	s_clause 0xd
	global_load_b128 v[32:35], v[32:33], off
	global_load_b128 v[36:39], v[36:37], off
	;; [unrolled: 1-line block ×14, first 2 shown]
	s_waitcnt vmcnt(5)
	v_fmac_f32_e32 v8, v64, v24
	v_fmac_f32_e32 v9, v60, v24
	s_waitcnt vmcnt(3)
	v_fmac_f32_e32 v6, v72, v24
	v_fmac_f32_e32 v7, v68, v24
	;; [unrolled: 3-line block ×3, first 2 shown]
	v_dual_fmac_f32 v16, v32, v24 :: v_dual_fmac_f32 v9, v61, v25
	v_fmac_f32_e32 v17, v28, v24
	s_delay_alu instid0(VALU_DEP_4) | instskip(NEXT) | instid1(VALU_DEP_3)
	v_dual_fmac_f32 v5, v76, v24 :: v_dual_fmac_f32 v4, v81, v25
	v_fmac_f32_e32 v16, v33, v25
	s_delay_alu instid0(VALU_DEP_3) | instskip(NEXT) | instid1(VALU_DEP_3)
	v_dual_fmac_f32 v12, v48, v24 :: v_dual_fmac_f32 v17, v29, v25
	v_fmac_f32_e32 v5, v77, v25
	v_dual_fmac_f32 v13, v44, v24 :: v_dual_fmac_f32 v6, v73, v25
	s_delay_alu instid0(VALU_DEP_3) | instskip(SKIP_2) | instid1(VALU_DEP_4)
	v_dual_fmac_f32 v12, v49, v25 :: v_dual_fmac_f32 v17, v30, v26
	v_dual_fmac_f32 v14, v40, v24 :: v_dual_fmac_f32 v7, v69, v25
	v_fmac_f32_e32 v15, v36, v24
	v_fmac_f32_e32 v13, v45, v25
	s_delay_alu instid0(VALU_DEP_3)
	v_dual_fmac_f32 v17, v31, v27 :: v_dual_fmac_f32 v14, v41, v25
	s_clause 0x1
	global_load_b128 v[28:31], v[88:89], off
	global_load_b128 v[88:91], v[90:91], off
	v_fmac_f32_e32 v15, v37, v25
	v_fmac_f32_e32 v13, v46, v26
	;; [unrolled: 1-line block ×6, first 2 shown]
	v_dual_fmac_f32 v14, v42, v26 :: v_dual_fmac_f32 v13, v47, v27
	v_dual_fmac_f32 v5, v78, v26 :: v_dual_fmac_f32 v12, v51, v27
	s_delay_alu instid0(VALU_DEP_3) | instskip(NEXT) | instid1(VALU_DEP_3)
	v_dual_fmac_f32 v4, v82, v26 :: v_dual_fmac_f32 v15, v39, v27
	v_dual_fmac_f32 v7, v70, v26 :: v_dual_fmac_f32 v14, v43, v27
	s_delay_alu instid0(VALU_DEP_3) | instskip(NEXT) | instid1(VALU_DEP_3)
	v_dual_fmac_f32 v6, v74, v26 :: v_dual_fmac_f32 v5, v79, v27
	v_fmac_f32_e32 v4, v83, v27
	s_delay_alu instid0(VALU_DEP_3) | instskip(SKIP_3) | instid1(VALU_DEP_2)
	v_fmac_f32_e32 v7, v71, v27
	v_fmac_f32_e32 v16, v35, v27
	v_dual_fmac_f32 v8, v66, v26 :: v_dual_fmac_f32 v9, v63, v27
	v_fmac_f32_e32 v6, v75, v27
	v_fmac_f32_e32 v8, v67, v27
	s_waitcnt vmcnt(1)
	v_fmac_f32_e32 v2, v28, v24
	v_fmac_f32_e32 v3, v84, v24
	s_waitcnt vmcnt(0)
	s_delay_alu instid0(VALU_DEP_2) | instskip(NEXT) | instid1(VALU_DEP_2)
	v_dual_fmac_f32 v1, v88, v24 :: v_dual_fmac_f32 v2, v29, v25
	v_dual_fmac_f32 v10, v56, v24 :: v_dual_fmac_f32 v3, v85, v25
	v_fmac_f32_e32 v11, v52, v24
	s_delay_alu instid0(VALU_DEP_3) | instskip(NEXT) | instid1(VALU_DEP_3)
	v_fmac_f32_e32 v1, v89, v25
	v_fmac_f32_e32 v10, v57, v25
	s_delay_alu instid0(VALU_DEP_3) | instskip(NEXT) | instid1(VALU_DEP_3)
	v_fmac_f32_e32 v11, v53, v25
	v_fmac_f32_e32 v1, v90, v26
	s_delay_alu instid0(VALU_DEP_2) | instskip(NEXT) | instid1(VALU_DEP_2)
	v_fmac_f32_e32 v11, v54, v26
	v_dual_fmac_f32 v10, v58, v26 :: v_dual_fmac_f32 v1, v91, v27
	s_delay_alu instid0(VALU_DEP_2) | instskip(NEXT) | instid1(VALU_DEP_2)
	v_fmac_f32_e32 v11, v55, v27
	v_dual_fmac_f32 v3, v86, v26 :: v_dual_fmac_f32 v10, v59, v27
	s_delay_alu instid0(VALU_DEP_1) | instskip(NEXT) | instid1(VALU_DEP_1)
	v_dual_fmac_f32 v2, v30, v26 :: v_dual_fmac_f32 v3, v87, v27
	v_fmac_f32_e32 v2, v31, v27
	s_cbranch_scc0 .LBB16_1
; %bb.2:
	v_mbcnt_lo_u32_b32 v21, -1, 0
	v_lshrrev_b32_e32 v25, 5, v0
	s_delay_alu instid0(VALU_DEP_2) | instskip(SKIP_1) | instid1(VALU_DEP_2)
	v_xor_b32_e32 v18, 16, v21
	v_xor_b32_e32 v19, 8, v21
	v_cmp_gt_i32_e32 vcc_lo, 32, v18
	v_cndmask_b32_e32 v18, v21, v18, vcc_lo
	s_delay_alu instid0(VALU_DEP_3) | instskip(SKIP_1) | instid1(VALU_DEP_1)
	v_cmp_gt_i32_e32 vcc_lo, 32, v19
	v_cndmask_b32_e32 v19, v21, v19, vcc_lo
	v_lshlrev_b32_e32 v19, 2, v19
	s_delay_alu instid0(VALU_DEP_4) | instskip(SKIP_4) | instid1(VALU_DEP_1)
	v_lshlrev_b32_e32 v18, 2, v18
	ds_bpermute_b32 v20, v18, v17
	s_waitcnt lgkmcnt(0)
	v_add_f32_e32 v20, v17, v20
	v_xor_b32_e32 v17, 4, v21
	v_cmp_gt_i32_e32 vcc_lo, 32, v17
	v_cndmask_b32_e32 v17, v21, v17, vcc_lo
	s_delay_alu instid0(VALU_DEP_1)
	v_lshlrev_b32_e32 v17, 2, v17
	ds_bpermute_b32 v22, v19, v20
	s_waitcnt lgkmcnt(0)
	v_add_f32_e32 v22, v20, v22
	v_xor_b32_e32 v20, 2, v21
	ds_bpermute_b32 v23, v17, v22
	v_cmp_gt_i32_e32 vcc_lo, 32, v20
	s_waitcnt lgkmcnt(0)
	v_dual_cndmask_b32 v20, v21, v20 :: v_dual_add_f32 v23, v22, v23
	v_xor_b32_e32 v22, 1, v21
	s_delay_alu instid0(VALU_DEP_1) | instskip(NEXT) | instid1(VALU_DEP_3)
	v_cmp_gt_i32_e32 vcc_lo, 32, v22
	v_dual_cndmask_b32 v21, v21, v22 :: v_dual_lshlrev_b32 v20, 2, v20
	ds_bpermute_b32 v24, v20, v23
	v_lshlrev_b32_e32 v22, 2, v21
	v_and_b32_e32 v21, 31, v0
	s_delay_alu instid0(VALU_DEP_1)
	v_cmp_eq_u32_e32 vcc_lo, 0, v21
	v_lshlrev_b32_e32 v21, 2, v25
	s_waitcnt lgkmcnt(0)
	v_add_f32_e32 v23, v23, v24
	ds_bpermute_b32 v24, v22, v23
	s_and_saveexec_b32 s0, vcc_lo
	s_cbranch_execz .LBB16_4
; %bb.3:
	s_waitcnt lgkmcnt(0)
	v_add_f32_e32 v23, v23, v24
	ds_store_b32 v21, v23
.LBB16_4:
	s_or_b32 exec_lo, exec_lo, s0
	ds_bpermute_b32 v23, v18, v16
	s_waitcnt lgkmcnt(0)
	v_add_f32_e32 v16, v16, v23
	ds_bpermute_b32 v23, v19, v16
	s_waitcnt lgkmcnt(0)
	v_add_f32_e32 v16, v16, v23
	ds_bpermute_b32 v23, v17, v16
	s_waitcnt lgkmcnt(0)
	v_add_f32_e32 v16, v16, v23
	ds_bpermute_b32 v23, v20, v16
	s_waitcnt lgkmcnt(0)
	v_add_f32_e32 v16, v16, v23
	ds_bpermute_b32 v23, v22, v16
	s_and_saveexec_b32 s0, vcc_lo
	s_cbranch_execz .LBB16_6
; %bb.5:
	s_waitcnt lgkmcnt(0)
	v_add_f32_e32 v16, v16, v23
	ds_store_b32 v21, v16 offset:16
.LBB16_6:
	s_or_b32 exec_lo, exec_lo, s0
	ds_bpermute_b32 v16, v18, v15
	s_waitcnt lgkmcnt(0)
	v_add_f32_e32 v15, v15, v16
	ds_bpermute_b32 v16, v19, v15
	s_waitcnt lgkmcnt(0)
	v_add_f32_e32 v15, v15, v16
	ds_bpermute_b32 v16, v17, v15
	s_waitcnt lgkmcnt(0)
	v_add_f32_e32 v15, v15, v16
	ds_bpermute_b32 v16, v20, v15
	s_waitcnt lgkmcnt(0)
	v_add_f32_e32 v15, v15, v16
	ds_bpermute_b32 v16, v22, v15
	s_and_saveexec_b32 s0, vcc_lo
	s_cbranch_execz .LBB16_8
; %bb.7:
	s_waitcnt lgkmcnt(0)
	v_add_f32_e32 v15, v15, v16
	ds_store_b32 v21, v15 offset:32
.LBB16_8:
	;; [unrolled: 21-line block ×16, first 2 shown]
	s_or_b32 exec_lo, exec_lo, s0
	s_waitcnt lgkmcnt(0)
	s_barrier
	buffer_gl0_inv
	s_mov_b32 s0, exec_lo
	v_cmpx_eq_u32_e32 0, v0
	s_cbranch_execz .LBB16_38
; %bb.37:
	v_mov_b32_e32 v48, 0
	s_ashr_i32 s3, s2, 31
	ds_load_b128 v[0:3], v48
	ds_load_b128 v[4:7], v48 offset:16
	ds_load_b128 v[8:11], v48 offset:32
	;; [unrolled: 1-line block ×7, first 2 shown]
	s_lshl_b64 s[0:1], s[2:3], 2
	s_delay_alu instid0(SALU_CYCLE_1)
	s_add_u32 s0, s4, s0
	s_addc_u32 s1, s5, s1
	s_waitcnt lgkmcnt(4)
	v_add_f32_e32 v12, 0, v12
	v_add_f32_e32 v0, 0, v0
	s_waitcnt lgkmcnt(2)
	v_add_f32_e32 v20, 0, v20
	v_add_f32_e32 v4, 0, v4
	;; [unrolled: 3-line block ×3, first 2 shown]
	s_delay_alu instid0(VALU_DEP_3)
	v_dual_add_f32 v1, v4, v5 :: v_dual_add_f32 v8, 0, v8
	ds_load_b128 v[32:35], v48 offset:128
	ds_load_b128 v[36:39], v48 offset:144
	;; [unrolled: 1-line block ×4, first 2 shown]
	v_add_f32_e32 v5, v12, v13
	v_add_f32_e32 v0, v0, v2
	v_dual_add_f32 v1, v1, v6 :: v_dual_add_f32 v4, v8, v9
	v_add_f32_e32 v12, v24, v25
	v_add_f32_e32 v16, 0, v16
	s_delay_alu instid0(VALU_DEP_3) | instskip(SKIP_1) | instid1(VALU_DEP_1)
	v_add_f32_e32 v2, v4, v10
	v_add_f32_e32 v4, v5, v14
	;; [unrolled: 1-line block ×5, first 2 shown]
	s_waitcnt lgkmcnt(3)
	v_dual_add_f32 v20, v0, v3 :: v_dual_add_f32 v3, 0, v32
	s_waitcnt lgkmcnt(0)
	v_dual_add_f32 v6, 0, v44 :: v_dual_add_f32 v1, v9, v22
	v_add_f32_e32 v28, 0, v28
	v_add_f32_e32 v4, 0, v36
	s_delay_alu instid0(VALU_DEP_3) | instskip(NEXT) | instid1(VALU_DEP_3)
	v_dual_add_f32 v32, v6, v45 :: v_dual_add_f32 v23, v1, v23
	v_add_f32_e32 v0, v28, v29
	v_add_f32_e32 v1, v3, v33
	;; [unrolled: 1-line block ×11, first 2 shown]
	ds_load_b128 v[0:3], v48 offset:192
	v_dual_add_f32 v28, v5, v19 :: v_dual_add_f32 v5, 0, v40
	s_delay_alu instid0(VALU_DEP_1)
	v_add_f32_e32 v31, v5, v41
	ds_load_b128 v[4:7], v48 offset:208
	ds_load_b128 v[8:11], v48 offset:224
	;; [unrolled: 1-line block ×4, first 2 shown]
	s_waitcnt lgkmcnt(4)
	v_add_f32_e32 v0, 0, v0
	s_waitcnt lgkmcnt(3)
	s_delay_alu instid0(VALU_DEP_1)
	v_dual_add_f32 v0, v0, v1 :: v_dual_add_f32 v1, 0, v4
	s_waitcnt lgkmcnt(2)
	v_add_f32_e32 v4, 0, v8
	s_waitcnt lgkmcnt(1)
	v_add_f32_e32 v8, 0, v12
	s_waitcnt lgkmcnt(0)
	v_add_f32_e32 v12, 0, v16
	v_dual_add_f32 v0, v0, v2 :: v_dual_add_f32 v1, v1, v5
	v_add_f32_e32 v2, v4, v9
	v_add_f32_e32 v4, v8, v13
	s_delay_alu instid0(VALU_DEP_4) | instskip(NEXT) | instid1(VALU_DEP_4)
	v_add_f32_e32 v5, v12, v17
	v_add_f32_e32 v0, v0, v3
	v_dual_mov_b32 v22, 0x1000 :: v_dual_add_f32 v1, v1, v6
	s_delay_alu instid0(VALU_DEP_4)
	v_add_f32_e32 v3, v4, v14
	s_clause 0x7
	global_store_b32 v48, v20, s[0:1]
	global_store_b32 v48, v21, s[0:1] offset:1024
	global_store_b32 v48, v24, s[0:1] offset:2048
	;; [unrolled: 1-line block ×3, first 2 shown]
	global_store_b32 v22, v28, s[0:1]
	global_store_b32 v22, v23, s[0:1] offset:1024
	global_store_b32 v22, v26, s[0:1] offset:2048
	;; [unrolled: 1-line block ×3, first 2 shown]
	v_add_f32_e32 v22, v31, v42
	v_dual_add_f32 v23, v32, v46 :: v_dual_add_f32 v20, v29, v35
	v_add_f32_e32 v3, v3, v15
	v_dual_add_f32 v21, v30, v38 :: v_dual_mov_b32 v24, 0x2000
	v_add_f32_e32 v2, v2, v10
	v_add_f32_e32 v4, v5, v18
	;; [unrolled: 1-line block ×3, first 2 shown]
	s_delay_alu instid0(VALU_DEP_4)
	v_add_f32_e32 v21, v21, v39
	v_add_f32_e32 v23, v23, v47
	v_mov_b32_e32 v5, 0x3000
	v_add_f32_e32 v1, v1, v7
	v_add_f32_e32 v2, v2, v11
	;; [unrolled: 1-line block ×3, first 2 shown]
	v_mov_b32_e32 v6, 0x4000
	s_clause 0x8
	global_store_b32 v24, v20, s[0:1]
	global_store_b32 v24, v21, s[0:1] offset:1024
	global_store_b32 v24, v22, s[0:1] offset:2048
	;; [unrolled: 1-line block ×3, first 2 shown]
	global_store_b32 v5, v0, s[0:1]
	global_store_b32 v5, v1, s[0:1] offset:1024
	global_store_b32 v5, v2, s[0:1] offset:2048
	global_store_b32 v5, v3, s[0:1] offset:3072
	global_store_b32 v6, v4, s[0:1]
.LBB16_38:
	s_nop 0
	s_sendmsg sendmsg(MSG_DEALLOC_VGPRS)
	s_endpgm
	.section	.rodata,"a",@progbits
	.p2align	6, 0x0
	.amdhsa_kernel _Z23fp32_router_gemm_kernelIfLi128ELi17ELi256ELi3072EEvPfPKT_PKf
		.amdhsa_group_segment_fixed_size 272
		.amdhsa_private_segment_fixed_size 0
		.amdhsa_kernarg_size 24
		.amdhsa_user_sgpr_count 15
		.amdhsa_user_sgpr_dispatch_ptr 0
		.amdhsa_user_sgpr_queue_ptr 0
		.amdhsa_user_sgpr_kernarg_segment_ptr 1
		.amdhsa_user_sgpr_dispatch_id 0
		.amdhsa_user_sgpr_private_segment_size 0
		.amdhsa_wavefront_size32 1
		.amdhsa_uses_dynamic_stack 0
		.amdhsa_enable_private_segment 0
		.amdhsa_system_sgpr_workgroup_id_x 1
		.amdhsa_system_sgpr_workgroup_id_y 0
		.amdhsa_system_sgpr_workgroup_id_z 0
		.amdhsa_system_sgpr_workgroup_info 0
		.amdhsa_system_vgpr_workitem_id 0
		.amdhsa_next_free_vgpr 92
		.amdhsa_next_free_sgpr 16
		.amdhsa_reserve_vcc 1
		.amdhsa_float_round_mode_32 0
		.amdhsa_float_round_mode_16_64 0
		.amdhsa_float_denorm_mode_32 3
		.amdhsa_float_denorm_mode_16_64 3
		.amdhsa_dx10_clamp 1
		.amdhsa_ieee_mode 1
		.amdhsa_fp16_overflow 0
		.amdhsa_workgroup_processor_mode 1
		.amdhsa_memory_ordered 1
		.amdhsa_forward_progress 0
		.amdhsa_shared_vgpr_count 0
		.amdhsa_exception_fp_ieee_invalid_op 0
		.amdhsa_exception_fp_denorm_src 0
		.amdhsa_exception_fp_ieee_div_zero 0
		.amdhsa_exception_fp_ieee_overflow 0
		.amdhsa_exception_fp_ieee_underflow 0
		.amdhsa_exception_fp_ieee_inexact 0
		.amdhsa_exception_int_div_zero 0
	.end_amdhsa_kernel
	.section	.text._Z23fp32_router_gemm_kernelIfLi128ELi17ELi256ELi3072EEvPfPKT_PKf,"axG",@progbits,_Z23fp32_router_gemm_kernelIfLi128ELi17ELi256ELi3072EEvPfPKT_PKf,comdat
.Lfunc_end16:
	.size	_Z23fp32_router_gemm_kernelIfLi128ELi17ELi256ELi3072EEvPfPKT_PKf, .Lfunc_end16-_Z23fp32_router_gemm_kernelIfLi128ELi17ELi256ELi3072EEvPfPKT_PKf
                                        ; -- End function
	.section	.AMDGPU.csdata,"",@progbits
; Kernel info:
; codeLenInByte = 3592
; NumSgprs: 18
; NumVgprs: 92
; ScratchSize: 0
; MemoryBound: 0
; FloatMode: 240
; IeeeMode: 1
; LDSByteSize: 272 bytes/workgroup (compile time only)
; SGPRBlocks: 2
; VGPRBlocks: 11
; NumSGPRsForWavesPerEU: 18
; NumVGPRsForWavesPerEU: 92
; Occupancy: 16
; WaveLimiterHint : 1
; COMPUTE_PGM_RSRC2:SCRATCH_EN: 0
; COMPUTE_PGM_RSRC2:USER_SGPR: 15
; COMPUTE_PGM_RSRC2:TRAP_HANDLER: 0
; COMPUTE_PGM_RSRC2:TGID_X_EN: 1
; COMPUTE_PGM_RSRC2:TGID_Y_EN: 0
; COMPUTE_PGM_RSRC2:TGID_Z_EN: 0
; COMPUTE_PGM_RSRC2:TIDIG_COMP_CNT: 0
	.section	.text._Z23fp32_router_gemm_kernelIfLi128ELi18ELi256ELi3072EEvPfPKT_PKf,"axG",@progbits,_Z23fp32_router_gemm_kernelIfLi128ELi18ELi256ELi3072EEvPfPKT_PKf,comdat
	.protected	_Z23fp32_router_gemm_kernelIfLi128ELi18ELi256ELi3072EEvPfPKT_PKf ; -- Begin function _Z23fp32_router_gemm_kernelIfLi128ELi18ELi256ELi3072EEvPfPKT_PKf
	.globl	_Z23fp32_router_gemm_kernelIfLi128ELi18ELi256ELi3072EEvPfPKT_PKf
	.p2align	8
	.type	_Z23fp32_router_gemm_kernelIfLi128ELi18ELi256ELi3072EEvPfPKT_PKf,@function
_Z23fp32_router_gemm_kernelIfLi128ELi18ELi256ELi3072EEvPfPKT_PKf: ; @_Z23fp32_router_gemm_kernelIfLi128ELi18ELi256ELi3072EEvPfPKT_PKf
; %bb.0:
	s_clause 0x1
	s_load_b128 s[4:7], s[0:1], 0x0
	s_load_b64 s[0:1], s[0:1], 0x10
	v_dual_mov_b32 v18, 0 :: v_dual_lshlrev_b32 v19, 2, v0
	s_mul_i32 s8, s15, 0xc00
	v_dual_mov_b32 v17, 0 :: v_dual_mov_b32 v16, 0
	s_ashr_i32 s9, s8, 31
	s_delay_alu instid0(VALU_DEP_2)
	v_or_b32_e32 v20, 0x200, v19
	v_or_b32_e32 v21, 0x400, v19
	;; [unrolled: 1-line block ×5, first 2 shown]
	s_lshl_b64 s[8:9], s[8:9], 2
	v_dual_mov_b32 v15, 0 :: v_dual_mov_b32 v14, 0
	v_dual_mov_b32 v13, 0 :: v_dual_mov_b32 v12, 0
	;; [unrolled: 1-line block ×7, first 2 shown]
	v_mov_b32_e32 v1, 0
	s_waitcnt lgkmcnt(0)
	s_add_u32 s0, s0, s8
	s_mov_b32 s2, s15
	s_addc_u32 s1, s1, s9
	s_mov_b64 s[8:9], 0
.LBB17_1:                               ; =>This Inner Loop Header: Depth=1
	s_delay_alu instid0(SALU_CYCLE_1)
	s_cmp_eq_u32 s8, 1
	s_cselect_b32 vcc_lo, -1, 0
	s_cmp_eq_u32 s8, 2
	v_cndmask_b32_e32 v25, v19, v20, vcc_lo
	s_cselect_b32 vcc_lo, -1, 0
	s_cmp_eq_u32 s8, 3
	s_delay_alu instid0(VALU_DEP_1) | instskip(SKIP_2) | instid1(VALU_DEP_1)
	v_cndmask_b32_e32 v25, v25, v21, vcc_lo
	s_cselect_b32 vcc_lo, -1, 0
	s_cmp_eq_u32 s8, 4
	v_cndmask_b32_e32 v25, v25, v22, vcc_lo
	s_cselect_b32 vcc_lo, -1, 0
	s_cmp_eq_u32 s8, 5
	s_delay_alu instid0(VALU_DEP_1)
	v_cndmask_b32_e32 v25, v25, v23, vcc_lo
	s_cselect_b32 vcc_lo, -1, 0
	s_add_u32 s8, s8, 1
	s_addc_u32 s9, s9, 0
	s_cmp_eq_u32 s8, 6
	v_cndmask_b32_e32 v25, v25, v24, vcc_lo
	s_delay_alu instid0(VALU_DEP_1) | instskip(NEXT) | instid1(VALU_DEP_1)
	v_lshlrev_b32_e32 v29, 2, v25
	v_add_co_u32 v35, s3, s6, v29
	s_delay_alu instid0(VALU_DEP_1)
	v_add_co_ci_u32_e64 v36, null, s7, 0, s3
	s_clause 0x1
	global_load_b128 v[25:28], v29, s[0:1]
	global_load_b128 v[29:32], v29, s[6:7]
	v_add_co_u32 v33, vcc_lo, 0x3000, v35
	v_add_co_ci_u32_e32 v34, vcc_lo, 0, v36, vcc_lo
	v_add_co_u32 v37, vcc_lo, 0x6000, v35
	v_add_co_ci_u32_e32 v38, vcc_lo, 0, v36, vcc_lo
	;; [unrolled: 2-line block ×17, first 2 shown]
	s_clause 0xc
	global_load_b128 v[33:36], v[33:34], off
	global_load_b128 v[37:40], v[37:38], off
	;; [unrolled: 1-line block ×13, first 2 shown]
	s_waitcnt vmcnt(11)
	v_fmac_f32_e32 v16, v37, v25
	s_waitcnt vmcnt(9)
	v_fmac_f32_e32 v14, v45, v25
	s_delay_alu instid0(VALU_DEP_2) | instskip(SKIP_1) | instid1(VALU_DEP_2)
	v_fmac_f32_e32 v16, v38, v26
	s_waitcnt vmcnt(2)
	v_dual_fmac_f32 v14, v46, v26 :: v_dual_fmac_f32 v7, v73, v25
	s_delay_alu instid0(VALU_DEP_2)
	v_fmac_f32_e32 v16, v39, v27
	s_waitcnt vmcnt(1)
	v_fmac_f32_e32 v6, v77, v25
	v_fmac_f32_e32 v13, v49, v25
	s_waitcnt vmcnt(0)
	v_dual_fmac_f32 v5, v81, v25 :: v_dual_fmac_f32 v14, v47, v27
	v_fmac_f32_e32 v7, v74, v26
	v_fmac_f32_e32 v6, v78, v26
	v_dual_fmac_f32 v10, v61, v25 :: v_dual_fmac_f32 v13, v50, v26
	v_fmac_f32_e32 v17, v33, v25
	v_dual_fmac_f32 v5, v82, v26 :: v_dual_fmac_f32 v14, v48, v28
	s_delay_alu instid0(VALU_DEP_3) | instskip(NEXT) | instid1(VALU_DEP_3)
	v_fmac_f32_e32 v10, v62, v26
	v_dual_fmac_f32 v18, v29, v25 :: v_dual_fmac_f32 v17, v34, v26
	v_fmac_f32_e32 v13, v51, v27
	v_fmac_f32_e32 v6, v79, v27
	s_delay_alu instid0(VALU_DEP_4) | instskip(NEXT) | instid1(VALU_DEP_4)
	v_fmac_f32_e32 v10, v63, v27
	v_dual_fmac_f32 v18, v30, v26 :: v_dual_fmac_f32 v17, v35, v27
	s_delay_alu instid0(VALU_DEP_3) | instskip(NEXT) | instid1(VALU_DEP_2)
	v_dual_fmac_f32 v5, v83, v27 :: v_dual_fmac_f32 v6, v80, v28
	v_dual_fmac_f32 v13, v52, v28 :: v_dual_fmac_f32 v18, v31, v27
	s_delay_alu instid0(VALU_DEP_3) | instskip(SKIP_1) | instid1(VALU_DEP_4)
	v_fmac_f32_e32 v17, v36, v28
	v_fmac_f32_e32 v10, v64, v28
	;; [unrolled: 1-line block ×5, first 2 shown]
	s_clause 0x3
	global_load_b128 v[29:32], v[85:86], off
	global_load_b128 v[85:88], v[87:88], off
	;; [unrolled: 1-line block ×4, first 2 shown]
	s_waitcnt vmcnt(3)
	v_fmac_f32_e32 v4, v29, v25
	v_fmac_f32_e32 v11, v57, v25
	s_waitcnt vmcnt(1)
	v_fmac_f32_e32 v2, v33, v25
	v_fmac_f32_e32 v9, v65, v25
	s_waitcnt vmcnt(0)
	v_dual_fmac_f32 v1, v89, v25 :: v_dual_fmac_f32 v4, v30, v26
	v_dual_fmac_f32 v8, v69, v25 :: v_dual_fmac_f32 v11, v58, v26
	;; [unrolled: 1-line block ×3, first 2 shown]
	v_fmac_f32_e32 v9, v66, v26
	s_delay_alu instid0(VALU_DEP_3) | instskip(NEXT) | instid1(VALU_DEP_3)
	v_fmac_f32_e32 v8, v70, v26
	v_dual_fmac_f32 v12, v53, v25 :: v_dual_fmac_f32 v15, v42, v26
	v_fmac_f32_e32 v1, v90, v26
	s_delay_alu instid0(VALU_DEP_4) | instskip(NEXT) | instid1(VALU_DEP_4)
	v_fmac_f32_e32 v9, v67, v27
	v_fmac_f32_e32 v8, v71, v27
	s_delay_alu instid0(VALU_DEP_4) | instskip(SKIP_1) | instid1(VALU_DEP_3)
	v_dual_fmac_f32 v12, v54, v26 :: v_dual_fmac_f32 v3, v85, v25
	v_fmac_f32_e32 v15, v43, v27
	v_dual_fmac_f32 v7, v75, v27 :: v_dual_fmac_f32 v8, v72, v28
	s_delay_alu instid0(VALU_DEP_3) | instskip(SKIP_1) | instid1(VALU_DEP_4)
	v_dual_fmac_f32 v12, v55, v27 :: v_dual_fmac_f32 v3, v86, v26
	v_fmac_f32_e32 v11, v59, v27
	v_dual_fmac_f32 v4, v31, v27 :: v_dual_fmac_f32 v15, v44, v28
	v_fmac_f32_e32 v2, v35, v27
	s_delay_alu instid0(VALU_DEP_4) | instskip(SKIP_2) | instid1(VALU_DEP_4)
	v_fmac_f32_e32 v3, v87, v27
	v_dual_fmac_f32 v1, v91, v27 :: v_dual_fmac_f32 v12, v56, v28
	v_fmac_f32_e32 v11, v60, v28
	v_fmac_f32_e32 v2, v36, v28
	v_fmac_f32_e32 v9, v68, v28
	v_fmac_f32_e32 v7, v76, v28
	v_fmac_f32_e32 v4, v32, v28
	v_fmac_f32_e32 v3, v88, v28
	v_fmac_f32_e32 v1, v92, v28
	s_cbranch_scc0 .LBB17_1
; %bb.2:
	v_mbcnt_lo_u32_b32 v22, -1, 0
	v_lshrrev_b32_e32 v26, 5, v0
	s_delay_alu instid0(VALU_DEP_2) | instskip(SKIP_1) | instid1(VALU_DEP_2)
	v_xor_b32_e32 v19, 16, v22
	v_xor_b32_e32 v20, 8, v22
	v_cmp_gt_i32_e32 vcc_lo, 32, v19
	v_cndmask_b32_e32 v19, v22, v19, vcc_lo
	s_delay_alu instid0(VALU_DEP_3) | instskip(SKIP_1) | instid1(VALU_DEP_1)
	v_cmp_gt_i32_e32 vcc_lo, 32, v20
	v_cndmask_b32_e32 v20, v22, v20, vcc_lo
	v_lshlrev_b32_e32 v20, 2, v20
	s_delay_alu instid0(VALU_DEP_4) | instskip(SKIP_4) | instid1(VALU_DEP_1)
	v_lshlrev_b32_e32 v19, 2, v19
	ds_bpermute_b32 v21, v19, v18
	s_waitcnt lgkmcnt(0)
	v_add_f32_e32 v21, v18, v21
	v_xor_b32_e32 v18, 4, v22
	v_cmp_gt_i32_e32 vcc_lo, 32, v18
	v_cndmask_b32_e32 v18, v22, v18, vcc_lo
	s_delay_alu instid0(VALU_DEP_1)
	v_lshlrev_b32_e32 v18, 2, v18
	ds_bpermute_b32 v23, v20, v21
	s_waitcnt lgkmcnt(0)
	v_add_f32_e32 v23, v21, v23
	v_xor_b32_e32 v21, 2, v22
	ds_bpermute_b32 v24, v18, v23
	v_cmp_gt_i32_e32 vcc_lo, 32, v21
	s_waitcnt lgkmcnt(0)
	v_dual_cndmask_b32 v21, v22, v21 :: v_dual_add_f32 v24, v23, v24
	v_xor_b32_e32 v23, 1, v22
	s_delay_alu instid0(VALU_DEP_1) | instskip(NEXT) | instid1(VALU_DEP_3)
	v_cmp_gt_i32_e32 vcc_lo, 32, v23
	v_dual_cndmask_b32 v22, v22, v23 :: v_dual_lshlrev_b32 v21, 2, v21
	ds_bpermute_b32 v25, v21, v24
	v_lshlrev_b32_e32 v23, 2, v22
	v_and_b32_e32 v22, 31, v0
	s_delay_alu instid0(VALU_DEP_1)
	v_cmp_eq_u32_e32 vcc_lo, 0, v22
	v_lshlrev_b32_e32 v22, 2, v26
	s_waitcnt lgkmcnt(0)
	v_add_f32_e32 v24, v24, v25
	ds_bpermute_b32 v25, v23, v24
	s_and_saveexec_b32 s0, vcc_lo
	s_cbranch_execz .LBB17_4
; %bb.3:
	s_waitcnt lgkmcnt(0)
	v_add_f32_e32 v24, v24, v25
	ds_store_b32 v22, v24
.LBB17_4:
	s_or_b32 exec_lo, exec_lo, s0
	ds_bpermute_b32 v24, v19, v17
	s_waitcnt lgkmcnt(0)
	v_add_f32_e32 v17, v17, v24
	ds_bpermute_b32 v24, v20, v17
	s_waitcnt lgkmcnt(0)
	v_add_f32_e32 v17, v17, v24
	ds_bpermute_b32 v24, v18, v17
	s_waitcnt lgkmcnt(0)
	v_add_f32_e32 v17, v17, v24
	ds_bpermute_b32 v24, v21, v17
	s_waitcnt lgkmcnt(0)
	v_add_f32_e32 v17, v17, v24
	ds_bpermute_b32 v24, v23, v17
	s_and_saveexec_b32 s0, vcc_lo
	s_cbranch_execz .LBB17_6
; %bb.5:
	s_waitcnt lgkmcnt(0)
	v_add_f32_e32 v17, v17, v24
	ds_store_b32 v22, v17 offset:16
.LBB17_6:
	s_or_b32 exec_lo, exec_lo, s0
	ds_bpermute_b32 v17, v19, v16
	s_waitcnt lgkmcnt(0)
	v_add_f32_e32 v16, v16, v17
	ds_bpermute_b32 v17, v20, v16
	s_waitcnt lgkmcnt(0)
	v_add_f32_e32 v16, v16, v17
	ds_bpermute_b32 v17, v18, v16
	s_waitcnt lgkmcnt(0)
	v_add_f32_e32 v16, v16, v17
	ds_bpermute_b32 v17, v21, v16
	s_waitcnt lgkmcnt(0)
	v_add_f32_e32 v16, v16, v17
	ds_bpermute_b32 v17, v23, v16
	s_and_saveexec_b32 s0, vcc_lo
	s_cbranch_execz .LBB17_8
; %bb.7:
	s_waitcnt lgkmcnt(0)
	v_add_f32_e32 v16, v16, v17
	ds_store_b32 v22, v16 offset:32
.LBB17_8:
	;; [unrolled: 21-line block ×17, first 2 shown]
	s_or_b32 exec_lo, exec_lo, s0
	s_waitcnt lgkmcnt(0)
	s_barrier
	buffer_gl0_inv
	s_mov_b32 s0, exec_lo
	v_cmpx_eq_u32_e32 0, v0
	s_cbranch_execz .LBB17_40
; %bb.39:
	v_mov_b32_e32 v36, 0
	s_ashr_i32 s3, s2, 31
	ds_load_b128 v[0:3], v36
	ds_load_b128 v[4:7], v36 offset:16
	ds_load_b128 v[8:11], v36 offset:32
	;; [unrolled: 1-line block ×7, first 2 shown]
	s_lshl_b64 s[0:1], s[2:3], 2
	s_delay_alu instid0(SALU_CYCLE_1)
	s_add_u32 s0, s4, s0
	s_addc_u32 s1, s5, s1
	s_waitcnt lgkmcnt(4)
	v_add_f32_e32 v12, 0, v12
	v_add_f32_e32 v0, 0, v0
	s_waitcnt lgkmcnt(3)
	v_add_f32_e32 v16, 0, v16
	s_waitcnt lgkmcnt(0)
	v_add_f32_e32 v28, 0, v28
	v_add_f32_e32 v8, 0, v8
	;; [unrolled: 1-line block ×3, first 2 shown]
	s_delay_alu instid0(VALU_DEP_1) | instskip(SKIP_2) | instid1(VALU_DEP_1)
	v_add_f32_e32 v0, v0, v2
	v_add_f32_e32 v20, 0, v20
	v_add_f32_e32 v4, 0, v4
	v_add_f32_e32 v1, v4, v5
	ds_load_b128 v[32:35], v36 offset:128
	v_add_f32_e32 v1, v1, v6
	v_add_f32_e32 v5, v12, v13
	;; [unrolled: 1-line block ×7, first 2 shown]
	s_delay_alu instid0(VALU_DEP_4) | instskip(SKIP_2) | instid1(VALU_DEP_4)
	v_add_f32_e32 v2, v4, v10
	v_add_f32_e32 v4, v5, v14
	v_dual_add_f32 v5, v8, v18 :: v_dual_add_f32 v24, 0, v24
	v_add_f32_e32 v16, v9, v22
	v_add_f32_e32 v18, v1, v7
	;; [unrolled: 1-line block ×5, first 2 shown]
	ds_load_b128 v[0:3], v36 offset:144
	ds_load_b128 v[4:7], v36 offset:160
	;; [unrolled: 1-line block ×3, first 2 shown]
	s_waitcnt lgkmcnt(2)
	v_add_f32_e32 v0, 0, v0
	s_waitcnt lgkmcnt(1)
	v_add_f32_e32 v4, 0, v4
	;; [unrolled: 2-line block ×3, first 2 shown]
	v_add_f32_e32 v0, v0, v1
	s_delay_alu instid0(VALU_DEP_3) | instskip(NEXT) | instid1(VALU_DEP_3)
	v_add_f32_e32 v1, v4, v5
	v_add_f32_e32 v4, v8, v9
	;; [unrolled: 1-line block ×3, first 2 shown]
	s_delay_alu instid0(VALU_DEP_4) | instskip(NEXT) | instid1(VALU_DEP_4)
	v_add_f32_e32 v0, v0, v2
	v_dual_add_f32 v1, v1, v6 :: v_dual_add_f32 v12, v24, v25
	v_dual_add_f32 v24, v13, v30 :: v_dual_add_f32 v25, 0, v32
	s_delay_alu instid0(VALU_DEP_2) | instskip(NEXT) | instid1(VALU_DEP_3)
	v_dual_add_f32 v2, v4, v10 :: v_dual_add_f32 v1, v1, v7
	v_add_f32_e32 v22, v12, v26
	ds_load_b128 v[12:15], v36 offset:192
	v_add_f32_e32 v0, v0, v3
	v_mov_b32_e32 v26, 0x1000
	v_add_f32_e32 v2, v2, v11
	v_add_f32_e32 v22, v22, v27
	v_mov_b32_e32 v6, 0x3000
	s_waitcnt lgkmcnt(0)
	v_add_f32_e32 v12, 0, v12
	s_delay_alu instid0(VALU_DEP_1) | instskip(NEXT) | instid1(VALU_DEP_1)
	v_dual_add_f32 v5, v12, v13 :: v_dual_mov_b32 v12, 0x4000
	v_dual_add_f32 v4, v5, v14 :: v_dual_mov_b32 v5, 0x2000
	s_delay_alu instid0(VALU_DEP_1)
	v_add_f32_e32 v3, v4, v15
	v_dual_add_f32 v23, v24, v31 :: v_dual_add_f32 v24, v25, v33
	s_clause 0x7
	global_store_b32 v36, v17, s[0:1]
	global_store_b32 v36, v18, s[0:1] offset:1024
	global_store_b32 v36, v20, s[0:1] offset:2048
	;; [unrolled: 1-line block ×3, first 2 shown]
	global_store_b32 v26, v19, s[0:1]
	global_store_b32 v26, v16, s[0:1] offset:1024
	global_store_b32 v26, v22, s[0:1] offset:2048
	;; [unrolled: 1-line block ×3, first 2 shown]
	ds_load_b128 v[16:19], v36 offset:208
	v_add_f32_e32 v32, v24, v34
	ds_load_b128 v[20:23], v36 offset:224
	ds_load_b128 v[24:27], v36 offset:240
	;; [unrolled: 1-line block ×4, first 2 shown]
	s_waitcnt lgkmcnt(4)
	v_add_f32_e32 v4, 0, v16
	s_waitcnt lgkmcnt(3)
	v_add_f32_e32 v7, 0, v20
	;; [unrolled: 2-line block ×4, first 2 shown]
	s_waitcnt lgkmcnt(0)
	v_dual_add_f32 v11, 0, v36 :: v_dual_add_f32 v4, v4, v17
	v_add_f32_e32 v7, v7, v21
	v_add_f32_e32 v9, v9, v25
	;; [unrolled: 1-line block ×3, first 2 shown]
	s_delay_alu instid0(VALU_DEP_4) | instskip(NEXT) | instid1(VALU_DEP_4)
	v_dual_add_f32 v11, v11, v37 :: v_dual_add_f32 v4, v4, v18
	v_add_f32_e32 v7, v7, v22
	s_delay_alu instid0(VALU_DEP_4) | instskip(NEXT) | instid1(VALU_DEP_4)
	v_add_f32_e32 v9, v9, v26
	v_add_f32_e32 v10, v10, v30
	s_delay_alu instid0(VALU_DEP_4) | instskip(NEXT) | instid1(VALU_DEP_4)
	v_dual_add_f32 v11, v11, v38 :: v_dual_add_f32 v4, v4, v19
	v_add_f32_e32 v7, v7, v23
	v_add_f32_e32 v8, v32, v35
	;; [unrolled: 1-line block ×5, first 2 shown]
	s_clause 0x9
	global_store_b32 v5, v8, s[0:1]
	global_store_b32 v5, v0, s[0:1] offset:1024
	global_store_b32 v5, v1, s[0:1] offset:2048
	;; [unrolled: 1-line block ×3, first 2 shown]
	global_store_b32 v6, v3, s[0:1]
	global_store_b32 v6, v4, s[0:1] offset:1024
	global_store_b32 v6, v7, s[0:1] offset:2048
	;; [unrolled: 1-line block ×3, first 2 shown]
	global_store_b32 v12, v10, s[0:1]
	global_store_b32 v12, v11, s[0:1] offset:1024
.LBB17_40:
	s_nop 0
	s_sendmsg sendmsg(MSG_DEALLOC_VGPRS)
	s_endpgm
	.section	.rodata,"a",@progbits
	.p2align	6, 0x0
	.amdhsa_kernel _Z23fp32_router_gemm_kernelIfLi128ELi18ELi256ELi3072EEvPfPKT_PKf
		.amdhsa_group_segment_fixed_size 288
		.amdhsa_private_segment_fixed_size 0
		.amdhsa_kernarg_size 24
		.amdhsa_user_sgpr_count 15
		.amdhsa_user_sgpr_dispatch_ptr 0
		.amdhsa_user_sgpr_queue_ptr 0
		.amdhsa_user_sgpr_kernarg_segment_ptr 1
		.amdhsa_user_sgpr_dispatch_id 0
		.amdhsa_user_sgpr_private_segment_size 0
		.amdhsa_wavefront_size32 1
		.amdhsa_uses_dynamic_stack 0
		.amdhsa_enable_private_segment 0
		.amdhsa_system_sgpr_workgroup_id_x 1
		.amdhsa_system_sgpr_workgroup_id_y 0
		.amdhsa_system_sgpr_workgroup_id_z 0
		.amdhsa_system_sgpr_workgroup_info 0
		.amdhsa_system_vgpr_workitem_id 0
		.amdhsa_next_free_vgpr 93
		.amdhsa_next_free_sgpr 16
		.amdhsa_reserve_vcc 1
		.amdhsa_float_round_mode_32 0
		.amdhsa_float_round_mode_16_64 0
		.amdhsa_float_denorm_mode_32 3
		.amdhsa_float_denorm_mode_16_64 3
		.amdhsa_dx10_clamp 1
		.amdhsa_ieee_mode 1
		.amdhsa_fp16_overflow 0
		.amdhsa_workgroup_processor_mode 1
		.amdhsa_memory_ordered 1
		.amdhsa_forward_progress 0
		.amdhsa_shared_vgpr_count 0
		.amdhsa_exception_fp_ieee_invalid_op 0
		.amdhsa_exception_fp_denorm_src 0
		.amdhsa_exception_fp_ieee_div_zero 0
		.amdhsa_exception_fp_ieee_overflow 0
		.amdhsa_exception_fp_ieee_underflow 0
		.amdhsa_exception_fp_ieee_inexact 0
		.amdhsa_exception_int_div_zero 0
	.end_amdhsa_kernel
	.section	.text._Z23fp32_router_gemm_kernelIfLi128ELi18ELi256ELi3072EEvPfPKT_PKf,"axG",@progbits,_Z23fp32_router_gemm_kernelIfLi128ELi18ELi256ELi3072EEvPfPKT_PKf,comdat
.Lfunc_end17:
	.size	_Z23fp32_router_gemm_kernelIfLi128ELi18ELi256ELi3072EEvPfPKT_PKf, .Lfunc_end17-_Z23fp32_router_gemm_kernelIfLi128ELi18ELi256ELi3072EEvPfPKT_PKf
                                        ; -- End function
	.section	.AMDGPU.csdata,"",@progbits
; Kernel info:
; codeLenInByte = 3788
; NumSgprs: 18
; NumVgprs: 93
; ScratchSize: 0
; MemoryBound: 0
; FloatMode: 240
; IeeeMode: 1
; LDSByteSize: 288 bytes/workgroup (compile time only)
; SGPRBlocks: 2
; VGPRBlocks: 11
; NumSGPRsForWavesPerEU: 18
; NumVGPRsForWavesPerEU: 93
; Occupancy: 16
; WaveLimiterHint : 1
; COMPUTE_PGM_RSRC2:SCRATCH_EN: 0
; COMPUTE_PGM_RSRC2:USER_SGPR: 15
; COMPUTE_PGM_RSRC2:TRAP_HANDLER: 0
; COMPUTE_PGM_RSRC2:TGID_X_EN: 1
; COMPUTE_PGM_RSRC2:TGID_Y_EN: 0
; COMPUTE_PGM_RSRC2:TGID_Z_EN: 0
; COMPUTE_PGM_RSRC2:TIDIG_COMP_CNT: 0
	.section	.text._Z23fp32_router_gemm_kernelIfLi128ELi19ELi256ELi3072EEvPfPKT_PKf,"axG",@progbits,_Z23fp32_router_gemm_kernelIfLi128ELi19ELi256ELi3072EEvPfPKT_PKf,comdat
	.protected	_Z23fp32_router_gemm_kernelIfLi128ELi19ELi256ELi3072EEvPfPKT_PKf ; -- Begin function _Z23fp32_router_gemm_kernelIfLi128ELi19ELi256ELi3072EEvPfPKT_PKf
	.globl	_Z23fp32_router_gemm_kernelIfLi128ELi19ELi256ELi3072EEvPfPKT_PKf
	.p2align	8
	.type	_Z23fp32_router_gemm_kernelIfLi128ELi19ELi256ELi3072EEvPfPKT_PKf,@function
_Z23fp32_router_gemm_kernelIfLi128ELi19ELi256ELi3072EEvPfPKT_PKf: ; @_Z23fp32_router_gemm_kernelIfLi128ELi19ELi256ELi3072EEvPfPKT_PKf
; %bb.0:
	s_clause 0x1
	s_load_b128 s[4:7], s[0:1], 0x0
	s_load_b64 s[0:1], s[0:1], 0x10
	v_dual_mov_b32 v19, 0 :: v_dual_lshlrev_b32 v20, 2, v0
	s_mul_i32 s8, s15, 0xc00
	v_dual_mov_b32 v18, 0 :: v_dual_mov_b32 v17, 0
	s_ashr_i32 s9, s8, 31
	s_delay_alu instid0(VALU_DEP_2)
	v_or_b32_e32 v21, 0x200, v20
	v_or_b32_e32 v22, 0x400, v20
	;; [unrolled: 1-line block ×5, first 2 shown]
	s_lshl_b64 s[8:9], s[8:9], 2
	v_dual_mov_b32 v16, 0 :: v_dual_mov_b32 v15, 0
	v_dual_mov_b32 v14, 0 :: v_dual_mov_b32 v13, 0
	v_dual_mov_b32 v12, 0 :: v_dual_mov_b32 v11, 0
	v_dual_mov_b32 v10, 0 :: v_dual_mov_b32 v9, 0
	v_dual_mov_b32 v8, 0 :: v_dual_mov_b32 v7, 0
	v_dual_mov_b32 v6, 0 :: v_dual_mov_b32 v5, 0
	v_dual_mov_b32 v4, 0 :: v_dual_mov_b32 v3, 0
	v_dual_mov_b32 v2, 0 :: v_dual_mov_b32 v1, 0
	s_waitcnt lgkmcnt(0)
	s_add_u32 s0, s0, s8
	s_mov_b32 s2, s15
	s_addc_u32 s1, s1, s9
	s_mov_b64 s[8:9], 0
.LBB18_1:                               ; =>This Inner Loop Header: Depth=1
	s_delay_alu instid0(SALU_CYCLE_1)
	s_cmp_eq_u32 s8, 1
	s_cselect_b32 vcc_lo, -1, 0
	s_cmp_eq_u32 s8, 2
	v_cndmask_b32_e32 v26, v20, v21, vcc_lo
	s_cselect_b32 vcc_lo, -1, 0
	s_cmp_eq_u32 s8, 3
	s_delay_alu instid0(VALU_DEP_1) | instskip(SKIP_2) | instid1(VALU_DEP_1)
	v_cndmask_b32_e32 v26, v26, v22, vcc_lo
	s_cselect_b32 vcc_lo, -1, 0
	s_cmp_eq_u32 s8, 4
	v_cndmask_b32_e32 v26, v26, v23, vcc_lo
	s_cselect_b32 vcc_lo, -1, 0
	s_cmp_eq_u32 s8, 5
	s_delay_alu instid0(VALU_DEP_1)
	v_cndmask_b32_e32 v26, v26, v24, vcc_lo
	s_cselect_b32 vcc_lo, -1, 0
	s_add_u32 s8, s8, 1
	s_addc_u32 s9, s9, 0
	s_cmp_eq_u32 s8, 6
	v_cndmask_b32_e32 v26, v26, v25, vcc_lo
	s_delay_alu instid0(VALU_DEP_1) | instskip(NEXT) | instid1(VALU_DEP_1)
	v_lshlrev_b32_e32 v30, 2, v26
	v_add_co_u32 v36, s3, s6, v30
	s_delay_alu instid0(VALU_DEP_1)
	v_add_co_ci_u32_e64 v37, null, s7, 0, s3
	s_clause 0x1
	global_load_b128 v[26:29], v30, s[0:1]
	global_load_b128 v[30:33], v30, s[6:7]
	v_add_co_u32 v34, vcc_lo, 0x3000, v36
	v_add_co_ci_u32_e32 v35, vcc_lo, 0, v37, vcc_lo
	v_add_co_u32 v38, vcc_lo, 0x6000, v36
	v_add_co_ci_u32_e32 v39, vcc_lo, 0, v37, vcc_lo
	v_add_co_u32 v42, vcc_lo, 0x9000, v36
	v_add_co_ci_u32_e32 v43, vcc_lo, 0, v37, vcc_lo
	v_add_co_u32 v46, vcc_lo, 0xc000, v36
	v_add_co_ci_u32_e32 v47, vcc_lo, 0, v37, vcc_lo
	v_add_co_u32 v50, vcc_lo, 0xf000, v36
	v_add_co_ci_u32_e32 v51, vcc_lo, 0, v37, vcc_lo
	v_add_co_u32 v54, vcc_lo, 0x12000, v36
	v_add_co_ci_u32_e32 v55, vcc_lo, 0, v37, vcc_lo
	v_add_co_u32 v58, vcc_lo, 0x15000, v36
	v_add_co_ci_u32_e32 v59, vcc_lo, 0, v37, vcc_lo
	v_add_co_u32 v62, vcc_lo, 0x18000, v36
	v_add_co_ci_u32_e32 v63, vcc_lo, 0, v37, vcc_lo
	v_add_co_u32 v66, vcc_lo, 0x1b000, v36
	v_add_co_ci_u32_e32 v67, vcc_lo, 0, v37, vcc_lo
	v_add_co_u32 v70, vcc_lo, 0x1e000, v36
	v_add_co_ci_u32_e32 v71, vcc_lo, 0, v37, vcc_lo
	v_add_co_u32 v74, vcc_lo, 0x21000, v36
	v_add_co_ci_u32_e32 v75, vcc_lo, 0, v37, vcc_lo
	v_add_co_u32 v78, vcc_lo, 0x24000, v36
	v_add_co_ci_u32_e32 v79, vcc_lo, 0, v37, vcc_lo
	v_add_co_u32 v80, vcc_lo, 0x27000, v36
	v_add_co_ci_u32_e32 v81, vcc_lo, 0, v37, vcc_lo
	v_add_co_u32 v82, vcc_lo, 0x2a000, v36
	v_add_co_ci_u32_e32 v83, vcc_lo, 0, v37, vcc_lo
	v_add_co_u32 v84, vcc_lo, 0x2d000, v36
	v_add_co_ci_u32_e32 v85, vcc_lo, 0, v37, vcc_lo
	v_add_co_u32 v86, vcc_lo, 0x30000, v36
	v_add_co_ci_u32_e32 v87, vcc_lo, 0, v37, vcc_lo
	v_add_co_u32 v88, vcc_lo, 0x33000, v36
	v_add_co_ci_u32_e32 v89, vcc_lo, 0, v37, vcc_lo
	v_add_co_u32 v90, vcc_lo, 0x36000, v36
	v_add_co_ci_u32_e32 v91, vcc_lo, 0, v37, vcc_lo
	s_clause 0xa
	global_load_b128 v[34:37], v[34:35], off
	global_load_b128 v[38:41], v[38:39], off
	;; [unrolled: 1-line block ×11, first 2 shown]
	s_waitcnt vmcnt(9)
	v_fmac_f32_e32 v17, v38, v26
	s_waitcnt vmcnt(6)
	v_fmac_f32_e32 v14, v50, v26
	v_fmac_f32_e32 v15, v46, v26
	s_waitcnt vmcnt(5)
	v_fmac_f32_e32 v13, v54, v26
	v_dual_fmac_f32 v16, v42, v26 :: v_dual_fmac_f32 v17, v39, v27
	v_fmac_f32_e32 v14, v51, v27
	v_dual_fmac_f32 v18, v34, v26 :: v_dual_fmac_f32 v15, v47, v27
	v_fmac_f32_e32 v19, v30, v26
	v_fmac_f32_e32 v13, v55, v27
	s_waitcnt vmcnt(3)
	v_dual_fmac_f32 v16, v43, v27 :: v_dual_fmac_f32 v11, v62, v26
	v_fmac_f32_e32 v18, v35, v27
	v_fmac_f32_e32 v19, v31, v27
	v_fmac_f32_e32 v17, v40, v28
	s_waitcnt vmcnt(1)
	v_dual_fmac_f32 v16, v44, v28 :: v_dual_fmac_f32 v9, v70, v26
	v_fmac_f32_e32 v18, v36, v28
	v_fmac_f32_e32 v19, v32, v28
	v_dual_fmac_f32 v17, v41, v29 :: v_dual_fmac_f32 v12, v58, v26
	s_delay_alu instid0(VALU_DEP_3) | instskip(NEXT) | instid1(VALU_DEP_3)
	v_dual_fmac_f32 v9, v71, v27 :: v_dual_fmac_f32 v18, v37, v29
	v_fmac_f32_e32 v19, v33, v29
	s_clause 0x5
	global_load_b128 v[30:33], v[78:79], off
	global_load_b128 v[78:81], v[80:81], off
	;; [unrolled: 1-line block ×6, first 2 shown]
	v_fmac_f32_e32 v16, v45, v29
	global_load_b128 v[42:45], v[90:91], off
	v_fmac_f32_e32 v11, v63, v27
	v_dual_fmac_f32 v12, v59, v27 :: v_dual_fmac_f32 v15, v48, v28
	v_fmac_f32_e32 v14, v52, v28
	v_fmac_f32_e32 v13, v56, v28
	;; [unrolled: 1-line block ×3, first 2 shown]
	s_delay_alu instid0(VALU_DEP_4) | instskip(NEXT) | instid1(VALU_DEP_4)
	v_dual_fmac_f32 v12, v60, v28 :: v_dual_fmac_f32 v15, v49, v29
	v_fmac_f32_e32 v14, v53, v29
	s_delay_alu instid0(VALU_DEP_4) | instskip(NEXT) | instid1(VALU_DEP_3)
	v_fmac_f32_e32 v13, v57, v29
	v_dual_fmac_f32 v11, v64, v28 :: v_dual_fmac_f32 v12, v61, v29
	v_fmac_f32_e32 v9, v73, v29
	s_delay_alu instid0(VALU_DEP_2)
	v_fmac_f32_e32 v11, v65, v29
	s_waitcnt vmcnt(6)
	v_fmac_f32_e32 v7, v30, v26
	v_fmac_f32_e32 v10, v66, v26
	s_waitcnt vmcnt(4)
	v_fmac_f32_e32 v5, v34, v26
	v_fmac_f32_e32 v8, v74, v26
	s_waitcnt vmcnt(1)
	v_dual_fmac_f32 v2, v86, v26 :: v_dual_fmac_f32 v7, v31, v27
	v_dual_fmac_f32 v3, v38, v26 :: v_dual_fmac_f32 v10, v67, v27
	;; [unrolled: 1-line block ×3, first 2 shown]
	s_waitcnt vmcnt(0)
	v_dual_fmac_f32 v1, v42, v26 :: v_dual_fmac_f32 v8, v75, v27
	s_delay_alu instid0(VALU_DEP_3) | instskip(NEXT) | instid1(VALU_DEP_3)
	v_dual_fmac_f32 v4, v82, v26 :: v_dual_fmac_f32 v3, v39, v27
	v_fmac_f32_e32 v6, v79, v27
	v_fmac_f32_e32 v2, v87, v27
	s_delay_alu instid0(VALU_DEP_4) | instskip(NEXT) | instid1(VALU_DEP_4)
	v_fmac_f32_e32 v1, v43, v27
	v_fmac_f32_e32 v4, v83, v27
	;; [unrolled: 1-line block ×8, first 2 shown]
	v_dual_fmac_f32 v3, v40, v28 :: v_dual_fmac_f32 v10, v69, v29
	v_fmac_f32_e32 v2, v88, v28
	v_dual_fmac_f32 v1, v44, v28 :: v_dual_fmac_f32 v8, v77, v29
	v_fmac_f32_e32 v7, v33, v29
	v_fmac_f32_e32 v6, v81, v29
	;; [unrolled: 1-line block ×7, first 2 shown]
	s_cbranch_scc0 .LBB18_1
; %bb.2:
	v_mbcnt_lo_u32_b32 v23, -1, 0
	v_lshrrev_b32_e32 v27, 5, v0
	s_delay_alu instid0(VALU_DEP_2) | instskip(SKIP_1) | instid1(VALU_DEP_2)
	v_xor_b32_e32 v20, 16, v23
	v_xor_b32_e32 v21, 8, v23
	v_cmp_gt_i32_e32 vcc_lo, 32, v20
	v_cndmask_b32_e32 v20, v23, v20, vcc_lo
	s_delay_alu instid0(VALU_DEP_3) | instskip(SKIP_1) | instid1(VALU_DEP_1)
	v_cmp_gt_i32_e32 vcc_lo, 32, v21
	v_cndmask_b32_e32 v21, v23, v21, vcc_lo
	v_lshlrev_b32_e32 v21, 2, v21
	s_delay_alu instid0(VALU_DEP_4) | instskip(SKIP_4) | instid1(VALU_DEP_1)
	v_lshlrev_b32_e32 v20, 2, v20
	ds_bpermute_b32 v22, v20, v19
	s_waitcnt lgkmcnt(0)
	v_add_f32_e32 v22, v19, v22
	v_xor_b32_e32 v19, 4, v23
	v_cmp_gt_i32_e32 vcc_lo, 32, v19
	v_cndmask_b32_e32 v19, v23, v19, vcc_lo
	s_delay_alu instid0(VALU_DEP_1)
	v_lshlrev_b32_e32 v19, 2, v19
	ds_bpermute_b32 v24, v21, v22
	s_waitcnt lgkmcnt(0)
	v_add_f32_e32 v24, v22, v24
	v_xor_b32_e32 v22, 2, v23
	ds_bpermute_b32 v25, v19, v24
	v_cmp_gt_i32_e32 vcc_lo, 32, v22
	s_waitcnt lgkmcnt(0)
	v_dual_cndmask_b32 v22, v23, v22 :: v_dual_add_f32 v25, v24, v25
	v_xor_b32_e32 v24, 1, v23
	s_delay_alu instid0(VALU_DEP_1) | instskip(NEXT) | instid1(VALU_DEP_3)
	v_cmp_gt_i32_e32 vcc_lo, 32, v24
	v_dual_cndmask_b32 v23, v23, v24 :: v_dual_lshlrev_b32 v22, 2, v22
	ds_bpermute_b32 v26, v22, v25
	v_lshlrev_b32_e32 v24, 2, v23
	v_and_b32_e32 v23, 31, v0
	s_delay_alu instid0(VALU_DEP_1)
	v_cmp_eq_u32_e32 vcc_lo, 0, v23
	v_lshlrev_b32_e32 v23, 2, v27
	s_waitcnt lgkmcnt(0)
	v_add_f32_e32 v25, v25, v26
	ds_bpermute_b32 v26, v24, v25
	s_and_saveexec_b32 s0, vcc_lo
	s_cbranch_execz .LBB18_4
; %bb.3:
	s_waitcnt lgkmcnt(0)
	v_add_f32_e32 v25, v25, v26
	ds_store_b32 v23, v25
.LBB18_4:
	s_or_b32 exec_lo, exec_lo, s0
	ds_bpermute_b32 v25, v20, v18
	s_waitcnt lgkmcnt(0)
	v_add_f32_e32 v18, v18, v25
	ds_bpermute_b32 v25, v21, v18
	s_waitcnt lgkmcnt(0)
	v_add_f32_e32 v18, v18, v25
	ds_bpermute_b32 v25, v19, v18
	s_waitcnt lgkmcnt(0)
	v_add_f32_e32 v18, v18, v25
	ds_bpermute_b32 v25, v22, v18
	s_waitcnt lgkmcnt(0)
	v_add_f32_e32 v18, v18, v25
	ds_bpermute_b32 v25, v24, v18
	s_and_saveexec_b32 s0, vcc_lo
	s_cbranch_execz .LBB18_6
; %bb.5:
	s_waitcnt lgkmcnt(0)
	v_add_f32_e32 v18, v18, v25
	ds_store_b32 v23, v18 offset:16
.LBB18_6:
	s_or_b32 exec_lo, exec_lo, s0
	ds_bpermute_b32 v18, v20, v17
	s_waitcnt lgkmcnt(0)
	v_add_f32_e32 v17, v17, v18
	ds_bpermute_b32 v18, v21, v17
	s_waitcnt lgkmcnt(0)
	v_add_f32_e32 v17, v17, v18
	ds_bpermute_b32 v18, v19, v17
	s_waitcnt lgkmcnt(0)
	v_add_f32_e32 v17, v17, v18
	ds_bpermute_b32 v18, v22, v17
	s_waitcnt lgkmcnt(0)
	v_add_f32_e32 v17, v17, v18
	ds_bpermute_b32 v18, v24, v17
	s_and_saveexec_b32 s0, vcc_lo
	s_cbranch_execz .LBB18_8
; %bb.7:
	s_waitcnt lgkmcnt(0)
	v_add_f32_e32 v17, v17, v18
	ds_store_b32 v23, v17 offset:32
.LBB18_8:
	;; [unrolled: 21-line block ×18, first 2 shown]
	s_or_b32 exec_lo, exec_lo, s0
	s_waitcnt lgkmcnt(0)
	s_barrier
	buffer_gl0_inv
	s_mov_b32 s0, exec_lo
	v_cmpx_eq_u32_e32 0, v0
	s_cbranch_execz .LBB18_42
; %bb.41:
	v_mov_b32_e32 v40, 0
	s_ashr_i32 s3, s2, 31
	ds_load_b128 v[0:3], v40
	ds_load_b128 v[4:7], v40 offset:16
	ds_load_b128 v[8:11], v40 offset:32
	;; [unrolled: 1-line block ×7, first 2 shown]
	s_lshl_b64 s[0:1], s[2:3], 2
	v_mov_b32_e32 v41, 0x2000
	s_add_u32 s0, s4, s0
	s_addc_u32 s1, s5, s1
	s_waitcnt lgkmcnt(4)
	v_add_f32_e32 v12, 0, v12
	v_add_f32_e32 v0, 0, v0
	s_waitcnt lgkmcnt(3)
	v_add_f32_e32 v16, 0, v16
	s_waitcnt lgkmcnt(1)
	;; [unrolled: 2-line block ×3, first 2 shown]
	v_add_f32_e32 v28, 0, v28
	v_add_f32_e32 v20, 0, v20
	;; [unrolled: 1-line block ×4, first 2 shown]
	s_delay_alu instid0(VALU_DEP_2)
	v_add_f32_e32 v1, v4, v5
	ds_load_b128 v[32:35], v40 offset:128
	ds_load_b128 v[36:39], v40 offset:144
	v_dual_add_f32 v5, v12, v13 :: v_dual_add_f32 v8, 0, v8
	v_add_f32_e32 v12, v24, v25
	v_add_f32_e32 v6, v1, v6
	s_delay_alu instid0(VALU_DEP_3) | instskip(NEXT) | instid1(VALU_DEP_2)
	v_dual_add_f32 v5, v5, v14 :: v_dual_add_f32 v4, v8, v9
	v_dual_add_f32 v8, v16, v17 :: v_dual_add_f32 v17, v6, v7
	v_add_f32_e32 v9, v20, v21
	s_delay_alu instid0(VALU_DEP_3) | instskip(SKIP_2) | instid1(VALU_DEP_1)
	v_dual_add_f32 v7, v12, v26 :: v_dual_add_f32 v20, v5, v15
	v_mov_b32_e32 v21, 0x1000
	v_add_f32_e32 v5, v28, v29
	v_add_f32_e32 v12, v5, v30
	s_waitcnt lgkmcnt(1)
	v_add_f32_e32 v6, 0, v32
	v_add_f32_e32 v8, v8, v18
	s_waitcnt lgkmcnt(0)
	v_add_f32_e32 v26, 0, v36
	s_delay_alu instid0(VALU_DEP_3) | instskip(NEXT) | instid1(VALU_DEP_3)
	v_dual_add_f32 v24, v12, v31 :: v_dual_add_f32 v13, v6, v33
	v_add_f32_e32 v19, v8, v19
	s_delay_alu instid0(VALU_DEP_3) | instskip(NEXT) | instid1(VALU_DEP_3)
	v_add_f32_e32 v37, v26, v37
	v_add_f32_e32 v25, v13, v34
	v_add_f32_e32 v4, v4, v10
	s_delay_alu instid0(VALU_DEP_2) | instskip(NEXT) | instid1(VALU_DEP_2)
	v_add_f32_e32 v36, v25, v35
	v_add_f32_e32 v18, v4, v11
	;; [unrolled: 1-line block ×3, first 2 shown]
	s_delay_alu instid0(VALU_DEP_1) | instskip(SKIP_1) | instid1(VALU_DEP_1)
	v_add_f32_e32 v22, v4, v23
	v_dual_add_f32 v23, v7, v27 :: v_dual_add_f32 v0, v0, v2
	v_add_f32_e32 v16, v0, v3
	ds_load_b128 v[0:3], v40 offset:160
	ds_load_b128 v[4:7], v40 offset:176
	;; [unrolled: 1-line block ×4, first 2 shown]
	s_waitcnt lgkmcnt(3)
	v_add_f32_e32 v0, 0, v0
	s_waitcnt lgkmcnt(2)
	s_delay_alu instid0(VALU_DEP_1) | instskip(NEXT) | instid1(VALU_DEP_1)
	v_dual_add_f32 v0, v0, v1 :: v_dual_add_f32 v1, 0, v4
	v_add_f32_e32 v1, v1, v5
	v_add_f32_e32 v5, v37, v38
	s_delay_alu instid0(VALU_DEP_2)
	v_add_f32_e32 v1, v1, v6
	s_clause 0x7
	global_store_b32 v40, v16, s[0:1]
	global_store_b32 v40, v17, s[0:1] offset:1024
	global_store_b32 v40, v18, s[0:1] offset:2048
	global_store_b32 v40, v20, s[0:1] offset:3072
	global_store_b32 v21, v19, s[0:1]
	global_store_b32 v21, v22, s[0:1] offset:1024
	global_store_b32 v21, v23, s[0:1] offset:2048
	;; [unrolled: 1-line block ×3, first 2 shown]
	ds_load_b128 v[16:19], v40 offset:224
	ds_load_b128 v[20:23], v40 offset:240
	;; [unrolled: 1-line block ×5, first 2 shown]
	s_waitcnt lgkmcnt(6)
	v_add_f32_e32 v4, 0, v8
	s_waitcnt lgkmcnt(5)
	v_dual_add_f32 v8, 0, v12 :: v_dual_add_f32 v1, v1, v7
	v_dual_add_f32 v5, v5, v39 :: v_dual_mov_b32 v6, 0x3000
	s_delay_alu instid0(VALU_DEP_3) | instskip(SKIP_1) | instid1(VALU_DEP_1)
	v_add_f32_e32 v4, v4, v9
	s_waitcnt lgkmcnt(3)
	v_dual_add_f32 v4, v4, v10 :: v_dual_add_f32 v7, 0, v20
	s_waitcnt lgkmcnt(1)
	v_add_f32_e32 v9, 0, v28
	s_waitcnt lgkmcnt(0)
	s_delay_alu instid0(VALU_DEP_2) | instskip(NEXT) | instid1(VALU_DEP_2)
	v_dual_add_f32 v10, 0, v32 :: v_dual_add_f32 v7, v7, v21
	v_add_f32_e32 v9, v9, v29
	s_delay_alu instid0(VALU_DEP_2) | instskip(NEXT) | instid1(VALU_DEP_2)
	v_dual_add_f32 v10, v10, v33 :: v_dual_add_f32 v7, v7, v22
	v_add_f32_e32 v9, v9, v30
	v_add_f32_e32 v0, v0, v2
	;; [unrolled: 1-line block ×4, first 2 shown]
	s_delay_alu instid0(VALU_DEP_4) | instskip(NEXT) | instid1(VALU_DEP_4)
	v_dual_add_f32 v10, v10, v34 :: v_dual_add_f32 v9, v9, v31
	v_add_f32_e32 v0, v0, v3
	v_dual_add_f32 v3, v4, v11 :: v_dual_add_f32 v4, 0, v16
	s_delay_alu instid0(VALU_DEP_4) | instskip(SKIP_1) | instid1(VALU_DEP_3)
	v_add_f32_e32 v8, v8, v25
	v_dual_add_f32 v2, v2, v14 :: v_dual_add_f32 v7, v7, v23
	v_dual_mov_b32 v11, 0x4000 :: v_dual_add_f32 v4, v4, v17
	s_delay_alu instid0(VALU_DEP_3) | instskip(NEXT) | instid1(VALU_DEP_3)
	v_add_f32_e32 v8, v8, v26
	v_add_f32_e32 v2, v2, v15
	;; [unrolled: 1-line block ×3, first 2 shown]
	s_delay_alu instid0(VALU_DEP_4) | instskip(NEXT) | instid1(VALU_DEP_4)
	v_add_f32_e32 v4, v4, v18
	v_add_f32_e32 v8, v8, v27
	s_delay_alu instid0(VALU_DEP_2)
	v_add_f32_e32 v4, v4, v19
	s_clause 0xa
	global_store_b32 v41, v36, s[0:1]
	global_store_b32 v41, v5, s[0:1] offset:1024
	global_store_b32 v41, v0, s[0:1] offset:2048
	;; [unrolled: 1-line block ×3, first 2 shown]
	global_store_b32 v6, v3, s[0:1]
	global_store_b32 v6, v2, s[0:1] offset:1024
	global_store_b32 v6, v4, s[0:1] offset:2048
	;; [unrolled: 1-line block ×3, first 2 shown]
	global_store_b32 v11, v8, s[0:1]
	global_store_b32 v11, v9, s[0:1] offset:1024
	global_store_b32 v11, v10, s[0:1] offset:2048
.LBB18_42:
	s_nop 0
	s_sendmsg sendmsg(MSG_DEALLOC_VGPRS)
	s_endpgm
	.section	.rodata,"a",@progbits
	.p2align	6, 0x0
	.amdhsa_kernel _Z23fp32_router_gemm_kernelIfLi128ELi19ELi256ELi3072EEvPfPKT_PKf
		.amdhsa_group_segment_fixed_size 304
		.amdhsa_private_segment_fixed_size 0
		.amdhsa_kernarg_size 24
		.amdhsa_user_sgpr_count 15
		.amdhsa_user_sgpr_dispatch_ptr 0
		.amdhsa_user_sgpr_queue_ptr 0
		.amdhsa_user_sgpr_kernarg_segment_ptr 1
		.amdhsa_user_sgpr_dispatch_id 0
		.amdhsa_user_sgpr_private_segment_size 0
		.amdhsa_wavefront_size32 1
		.amdhsa_uses_dynamic_stack 0
		.amdhsa_enable_private_segment 0
		.amdhsa_system_sgpr_workgroup_id_x 1
		.amdhsa_system_sgpr_workgroup_id_y 0
		.amdhsa_system_sgpr_workgroup_id_z 0
		.amdhsa_system_sgpr_workgroup_info 0
		.amdhsa_system_vgpr_workitem_id 0
		.amdhsa_next_free_vgpr 92
		.amdhsa_next_free_sgpr 16
		.amdhsa_reserve_vcc 1
		.amdhsa_float_round_mode_32 0
		.amdhsa_float_round_mode_16_64 0
		.amdhsa_float_denorm_mode_32 3
		.amdhsa_float_denorm_mode_16_64 3
		.amdhsa_dx10_clamp 1
		.amdhsa_ieee_mode 1
		.amdhsa_fp16_overflow 0
		.amdhsa_workgroup_processor_mode 1
		.amdhsa_memory_ordered 1
		.amdhsa_forward_progress 0
		.amdhsa_shared_vgpr_count 0
		.amdhsa_exception_fp_ieee_invalid_op 0
		.amdhsa_exception_fp_denorm_src 0
		.amdhsa_exception_fp_ieee_div_zero 0
		.amdhsa_exception_fp_ieee_overflow 0
		.amdhsa_exception_fp_ieee_underflow 0
		.amdhsa_exception_fp_ieee_inexact 0
		.amdhsa_exception_int_div_zero 0
	.end_amdhsa_kernel
	.section	.text._Z23fp32_router_gemm_kernelIfLi128ELi19ELi256ELi3072EEvPfPKT_PKf,"axG",@progbits,_Z23fp32_router_gemm_kernelIfLi128ELi19ELi256ELi3072EEvPfPKT_PKf,comdat
.Lfunc_end18:
	.size	_Z23fp32_router_gemm_kernelIfLi128ELi19ELi256ELi3072EEvPfPKT_PKf, .Lfunc_end18-_Z23fp32_router_gemm_kernelIfLi128ELi19ELi256ELi3072EEvPfPKT_PKf
                                        ; -- End function
	.section	.AMDGPU.csdata,"",@progbits
; Kernel info:
; codeLenInByte = 3976
; NumSgprs: 18
; NumVgprs: 92
; ScratchSize: 0
; MemoryBound: 0
; FloatMode: 240
; IeeeMode: 1
; LDSByteSize: 304 bytes/workgroup (compile time only)
; SGPRBlocks: 2
; VGPRBlocks: 11
; NumSGPRsForWavesPerEU: 18
; NumVGPRsForWavesPerEU: 92
; Occupancy: 16
; WaveLimiterHint : 1
; COMPUTE_PGM_RSRC2:SCRATCH_EN: 0
; COMPUTE_PGM_RSRC2:USER_SGPR: 15
; COMPUTE_PGM_RSRC2:TRAP_HANDLER: 0
; COMPUTE_PGM_RSRC2:TGID_X_EN: 1
; COMPUTE_PGM_RSRC2:TGID_Y_EN: 0
; COMPUTE_PGM_RSRC2:TGID_Z_EN: 0
; COMPUTE_PGM_RSRC2:TIDIG_COMP_CNT: 0
	.section	.text._Z23fp32_router_gemm_kernelIfLi128ELi20ELi256ELi3072EEvPfPKT_PKf,"axG",@progbits,_Z23fp32_router_gemm_kernelIfLi128ELi20ELi256ELi3072EEvPfPKT_PKf,comdat
	.protected	_Z23fp32_router_gemm_kernelIfLi128ELi20ELi256ELi3072EEvPfPKT_PKf ; -- Begin function _Z23fp32_router_gemm_kernelIfLi128ELi20ELi256ELi3072EEvPfPKT_PKf
	.globl	_Z23fp32_router_gemm_kernelIfLi128ELi20ELi256ELi3072EEvPfPKT_PKf
	.p2align	8
	.type	_Z23fp32_router_gemm_kernelIfLi128ELi20ELi256ELi3072EEvPfPKT_PKf,@function
_Z23fp32_router_gemm_kernelIfLi128ELi20ELi256ELi3072EEvPfPKT_PKf: ; @_Z23fp32_router_gemm_kernelIfLi128ELi20ELi256ELi3072EEvPfPKT_PKf
; %bb.0:
	s_clause 0x1
	s_load_b128 s[4:7], s[0:1], 0x0
	s_load_b64 s[0:1], s[0:1], 0x10
	v_dual_mov_b32 v20, 0 :: v_dual_lshlrev_b32 v21, 2, v0
	s_mul_i32 s8, s15, 0xc00
	v_dual_mov_b32 v19, 0 :: v_dual_mov_b32 v18, 0
	s_ashr_i32 s9, s8, 31
	s_delay_alu instid0(VALU_DEP_2)
	v_or_b32_e32 v22, 0x200, v21
	v_or_b32_e32 v23, 0x400, v21
	;; [unrolled: 1-line block ×5, first 2 shown]
	s_lshl_b64 s[8:9], s[8:9], 2
	v_dual_mov_b32 v17, 0 :: v_dual_mov_b32 v16, 0
	v_dual_mov_b32 v15, 0 :: v_dual_mov_b32 v14, 0
	;; [unrolled: 1-line block ×8, first 2 shown]
	v_mov_b32_e32 v1, 0
	s_waitcnt lgkmcnt(0)
	s_add_u32 s0, s0, s8
	s_mov_b32 s2, s15
	s_addc_u32 s1, s1, s9
	s_mov_b64 s[8:9], 0
.LBB19_1:                               ; =>This Inner Loop Header: Depth=1
	s_delay_alu instid0(SALU_CYCLE_1)
	s_cmp_eq_u32 s8, 1
	s_cselect_b32 vcc_lo, -1, 0
	s_cmp_eq_u32 s8, 2
	v_cndmask_b32_e32 v27, v21, v22, vcc_lo
	s_cselect_b32 vcc_lo, -1, 0
	s_cmp_eq_u32 s8, 3
	s_delay_alu instid0(VALU_DEP_1) | instskip(SKIP_2) | instid1(VALU_DEP_1)
	v_cndmask_b32_e32 v27, v27, v23, vcc_lo
	s_cselect_b32 vcc_lo, -1, 0
	s_cmp_eq_u32 s8, 4
	v_cndmask_b32_e32 v27, v27, v24, vcc_lo
	s_cselect_b32 vcc_lo, -1, 0
	s_cmp_eq_u32 s8, 5
	s_delay_alu instid0(VALU_DEP_1)
	v_cndmask_b32_e32 v27, v27, v25, vcc_lo
	s_cselect_b32 vcc_lo, -1, 0
	s_add_u32 s8, s8, 1
	s_addc_u32 s9, s9, 0
	s_cmp_eq_u32 s8, 6
	v_cndmask_b32_e32 v27, v27, v26, vcc_lo
	s_delay_alu instid0(VALU_DEP_1) | instskip(NEXT) | instid1(VALU_DEP_1)
	v_lshlrev_b32_e32 v31, 2, v27
	v_add_co_u32 v37, s3, s6, v31
	s_delay_alu instid0(VALU_DEP_1)
	v_add_co_ci_u32_e64 v38, null, s7, 0, s3
	s_clause 0x1
	global_load_b128 v[27:30], v31, s[0:1]
	global_load_b128 v[31:34], v31, s[6:7]
	v_add_co_u32 v35, vcc_lo, 0x3000, v37
	v_add_co_ci_u32_e32 v36, vcc_lo, 0, v38, vcc_lo
	v_add_co_u32 v39, vcc_lo, 0x6000, v37
	v_add_co_ci_u32_e32 v40, vcc_lo, 0, v38, vcc_lo
	;; [unrolled: 2-line block ×19, first 2 shown]
	s_clause 0x9
	global_load_b128 v[35:38], v[35:36], off
	global_load_b128 v[39:42], v[39:40], off
	;; [unrolled: 1-line block ×10, first 2 shown]
	s_waitcnt vmcnt(8)
	v_fmac_f32_e32 v18, v39, v27
	s_waitcnt vmcnt(5)
	v_fmac_f32_e32 v15, v51, v27
	v_fmac_f32_e32 v16, v47, v27
	s_delay_alu instid0(VALU_DEP_3)
	v_fmac_f32_e32 v18, v40, v28
	s_waitcnt vmcnt(4)
	v_fmac_f32_e32 v14, v55, v27
	s_waitcnt vmcnt(2)
	v_dual_fmac_f32 v12, v63, v27 :: v_dual_fmac_f32 v15, v52, v28
	v_dual_fmac_f32 v19, v35, v27 :: v_dual_fmac_f32 v16, v48, v28
	v_fmac_f32_e32 v20, v31, v27
	v_dual_fmac_f32 v18, v41, v29 :: v_dual_fmac_f32 v13, v59, v27
	s_delay_alu instid0(VALU_DEP_4) | instskip(NEXT) | instid1(VALU_DEP_4)
	v_fmac_f32_e32 v12, v64, v28
	v_fmac_f32_e32 v19, v36, v28
	s_delay_alu instid0(VALU_DEP_4) | instskip(SKIP_1) | instid1(VALU_DEP_3)
	v_fmac_f32_e32 v20, v32, v28
	v_dual_fmac_f32 v16, v49, v29 :: v_dual_fmac_f32 v17, v43, v27
	v_dual_fmac_f32 v18, v42, v30 :: v_dual_fmac_f32 v19, v37, v29
	s_delay_alu instid0(VALU_DEP_3) | instskip(NEXT) | instid1(VALU_DEP_3)
	v_fmac_f32_e32 v20, v33, v29
	v_dual_fmac_f32 v16, v50, v30 :: v_dual_fmac_f32 v17, v44, v28
	s_waitcnt vmcnt(0)
	s_delay_alu instid0(VALU_DEP_3) | instskip(NEXT) | instid1(VALU_DEP_3)
	v_dual_fmac_f32 v10, v71, v27 :: v_dual_fmac_f32 v19, v38, v30
	v_fmac_f32_e32 v20, v34, v30
	s_clause 0x3
	global_load_b128 v[31:34], v[75:76], off
	global_load_b128 v[75:78], v[77:78], off
	;; [unrolled: 1-line block ×4, first 2 shown]
	v_fmac_f32_e32 v17, v45, v29
	s_clause 0x1
	global_load_b128 v[39:42], v[83:84], off
	global_load_b128 v[83:86], v[85:86], off
	v_dual_fmac_f32 v11, v67, v27 :: v_dual_fmac_f32 v10, v72, v28
	v_dual_fmac_f32 v14, v56, v28 :: v_dual_fmac_f32 v17, v46, v30
	s_clause 0x2
	global_load_b128 v[43:46], v[87:88], off
	global_load_b128 v[87:90], v[89:90], off
	;; [unrolled: 1-line block ×3, first 2 shown]
	v_fmac_f32_e32 v13, v60, v28
	v_dual_fmac_f32 v11, v68, v28 :: v_dual_fmac_f32 v14, v57, v29
	v_fmac_f32_e32 v15, v53, v29
	v_fmac_f32_e32 v12, v65, v29
	s_delay_alu instid0(VALU_DEP_4) | instskip(SKIP_4) | instid1(VALU_DEP_4)
	v_fmac_f32_e32 v13, v61, v29
	v_fmac_f32_e32 v10, v73, v29
	v_dual_fmac_f32 v11, v69, v29 :: v_dual_fmac_f32 v14, v58, v30
	v_fmac_f32_e32 v15, v54, v30
	v_fmac_f32_e32 v12, v66, v30
	;; [unrolled: 1-line block ×4, first 2 shown]
	s_waitcnt vmcnt(7)
	v_dual_fmac_f32 v11, v70, v30 :: v_dual_fmac_f32 v8, v75, v27
	v_fmac_f32_e32 v9, v31, v27
	s_waitcnt vmcnt(5)
	v_fmac_f32_e32 v6, v79, v27
	s_delay_alu instid0(VALU_DEP_3)
	v_dual_fmac_f32 v7, v35, v27 :: v_dual_fmac_f32 v8, v76, v28
	s_waitcnt vmcnt(3)
	v_dual_fmac_f32 v4, v83, v27 :: v_dual_fmac_f32 v9, v32, v28
	v_fmac_f32_e32 v5, v39, v27
	s_waitcnt vmcnt(0)
	v_dual_fmac_f32 v1, v47, v27 :: v_dual_fmac_f32 v6, v80, v28
	v_dual_fmac_f32 v2, v87, v27 :: v_dual_fmac_f32 v7, v36, v28
	;; [unrolled: 1-line block ×3, first 2 shown]
	v_fmac_f32_e32 v5, v40, v28
	s_delay_alu instid0(VALU_DEP_3) | instskip(SKIP_1) | instid1(VALU_DEP_4)
	v_fmac_f32_e32 v2, v88, v28
	v_dual_fmac_f32 v1, v48, v28 :: v_dual_fmac_f32 v8, v77, v29
	v_fmac_f32_e32 v3, v44, v28
	v_fmac_f32_e32 v9, v33, v29
	;; [unrolled: 1-line block ×8, first 2 shown]
	v_dual_fmac_f32 v1, v49, v29 :: v_dual_fmac_f32 v8, v78, v30
	v_fmac_f32_e32 v9, v34, v30
	s_delay_alu instid0(VALU_DEP_4)
	v_fmac_f32_e32 v2, v90, v30
	v_fmac_f32_e32 v6, v82, v30
	;; [unrolled: 1-line block ×7, first 2 shown]
	s_cbranch_scc0 .LBB19_1
; %bb.2:
	v_mbcnt_lo_u32_b32 v24, -1, 0
	v_lshrrev_b32_e32 v28, 5, v0
	s_delay_alu instid0(VALU_DEP_2) | instskip(SKIP_1) | instid1(VALU_DEP_2)
	v_xor_b32_e32 v21, 16, v24
	v_xor_b32_e32 v22, 8, v24
	v_cmp_gt_i32_e32 vcc_lo, 32, v21
	v_cndmask_b32_e32 v21, v24, v21, vcc_lo
	s_delay_alu instid0(VALU_DEP_3) | instskip(SKIP_1) | instid1(VALU_DEP_1)
	v_cmp_gt_i32_e32 vcc_lo, 32, v22
	v_cndmask_b32_e32 v22, v24, v22, vcc_lo
	v_lshlrev_b32_e32 v22, 2, v22
	s_delay_alu instid0(VALU_DEP_4) | instskip(SKIP_4) | instid1(VALU_DEP_1)
	v_lshlrev_b32_e32 v21, 2, v21
	ds_bpermute_b32 v23, v21, v20
	s_waitcnt lgkmcnt(0)
	v_add_f32_e32 v23, v20, v23
	v_xor_b32_e32 v20, 4, v24
	v_cmp_gt_i32_e32 vcc_lo, 32, v20
	v_cndmask_b32_e32 v20, v24, v20, vcc_lo
	s_delay_alu instid0(VALU_DEP_1)
	v_lshlrev_b32_e32 v20, 2, v20
	ds_bpermute_b32 v25, v22, v23
	s_waitcnt lgkmcnt(0)
	v_add_f32_e32 v25, v23, v25
	v_xor_b32_e32 v23, 2, v24
	ds_bpermute_b32 v26, v20, v25
	v_cmp_gt_i32_e32 vcc_lo, 32, v23
	s_waitcnt lgkmcnt(0)
	v_dual_cndmask_b32 v23, v24, v23 :: v_dual_add_f32 v26, v25, v26
	v_xor_b32_e32 v25, 1, v24
	s_delay_alu instid0(VALU_DEP_1) | instskip(NEXT) | instid1(VALU_DEP_3)
	v_cmp_gt_i32_e32 vcc_lo, 32, v25
	v_dual_cndmask_b32 v24, v24, v25 :: v_dual_lshlrev_b32 v23, 2, v23
	ds_bpermute_b32 v27, v23, v26
	v_lshlrev_b32_e32 v25, 2, v24
	v_and_b32_e32 v24, 31, v0
	s_delay_alu instid0(VALU_DEP_1)
	v_cmp_eq_u32_e32 vcc_lo, 0, v24
	v_lshlrev_b32_e32 v24, 2, v28
	s_waitcnt lgkmcnt(0)
	v_add_f32_e32 v26, v26, v27
	ds_bpermute_b32 v27, v25, v26
	s_and_saveexec_b32 s0, vcc_lo
	s_cbranch_execz .LBB19_4
; %bb.3:
	s_waitcnt lgkmcnt(0)
	v_add_f32_e32 v26, v26, v27
	ds_store_b32 v24, v26
.LBB19_4:
	s_or_b32 exec_lo, exec_lo, s0
	ds_bpermute_b32 v26, v21, v19
	s_waitcnt lgkmcnt(0)
	v_add_f32_e32 v19, v19, v26
	ds_bpermute_b32 v26, v22, v19
	s_waitcnt lgkmcnt(0)
	v_add_f32_e32 v19, v19, v26
	ds_bpermute_b32 v26, v20, v19
	s_waitcnt lgkmcnt(0)
	v_add_f32_e32 v19, v19, v26
	ds_bpermute_b32 v26, v23, v19
	s_waitcnt lgkmcnt(0)
	v_add_f32_e32 v19, v19, v26
	ds_bpermute_b32 v26, v25, v19
	s_and_saveexec_b32 s0, vcc_lo
	s_cbranch_execz .LBB19_6
; %bb.5:
	s_waitcnt lgkmcnt(0)
	v_add_f32_e32 v19, v19, v26
	ds_store_b32 v24, v19 offset:16
.LBB19_6:
	s_or_b32 exec_lo, exec_lo, s0
	ds_bpermute_b32 v19, v21, v18
	s_waitcnt lgkmcnt(0)
	v_add_f32_e32 v18, v18, v19
	ds_bpermute_b32 v19, v22, v18
	s_waitcnt lgkmcnt(0)
	v_add_f32_e32 v18, v18, v19
	ds_bpermute_b32 v19, v20, v18
	s_waitcnt lgkmcnt(0)
	v_add_f32_e32 v18, v18, v19
	ds_bpermute_b32 v19, v23, v18
	s_waitcnt lgkmcnt(0)
	v_add_f32_e32 v18, v18, v19
	ds_bpermute_b32 v19, v25, v18
	s_and_saveexec_b32 s0, vcc_lo
	s_cbranch_execz .LBB19_8
; %bb.7:
	s_waitcnt lgkmcnt(0)
	v_add_f32_e32 v18, v18, v19
	ds_store_b32 v24, v18 offset:32
.LBB19_8:
	;; [unrolled: 21-line block ×19, first 2 shown]
	s_or_b32 exec_lo, exec_lo, s0
	s_waitcnt lgkmcnt(0)
	s_barrier
	buffer_gl0_inv
	s_mov_b32 s0, exec_lo
	v_cmpx_eq_u32_e32 0, v0
	s_cbranch_execz .LBB19_44
; %bb.43:
	v_mov_b32_e32 v40, 0
	s_ashr_i32 s3, s2, 31
	ds_load_b128 v[0:3], v40
	ds_load_b128 v[4:7], v40 offset:16
	ds_load_b128 v[8:11], v40 offset:32
	;; [unrolled: 1-line block ×7, first 2 shown]
	s_lshl_b64 s[0:1], s[2:3], 2
	s_delay_alu instid0(SALU_CYCLE_1)
	s_add_u32 s0, s4, s0
	s_addc_u32 s1, s5, s1
	s_waitcnt lgkmcnt(4)
	v_add_f32_e32 v12, 0, v12
	v_add_f32_e32 v0, 0, v0
	s_waitcnt lgkmcnt(2)
	v_add_f32_e32 v20, 0, v20
	v_add_f32_e32 v4, 0, v4
	;; [unrolled: 1-line block ×3, first 2 shown]
	s_waitcnt lgkmcnt(0)
	v_add_f32_e32 v28, 0, v28
	v_add_f32_e32 v0, v0, v1
	v_dual_add_f32 v8, 0, v8 :: v_dual_add_f32 v1, v4, v5
	ds_load_b128 v[32:35], v40 offset:128
	ds_load_b128 v[36:39], v40 offset:144
	v_add_f32_e32 v0, v0, v2
	v_add_f32_e32 v1, v1, v6
	;; [unrolled: 1-line block ×8, first 2 shown]
	s_delay_alu instid0(VALU_DEP_4)
	v_dual_add_f32 v21, v1, v7 :: v_dual_add_f32 v2, v4, v10
	v_dual_add_f32 v10, v13, v30 :: v_dual_mov_b32 v29, 0x1000
	s_waitcnt lgkmcnt(1)
	v_add_f32_e32 v0, 0, v32
	v_add_f32_e32 v4, v5, v14
	v_dual_add_f32 v24, 0, v24 :: v_dual_add_f32 v5, v8, v18
	v_add_f32_e32 v8, v9, v22
	s_delay_alu instid0(VALU_DEP_2) | instskip(SKIP_1) | instid1(VALU_DEP_4)
	v_add_f32_e32 v12, v24, v25
	v_add_f32_e32 v24, v2, v11
	v_dual_add_f32 v28, v5, v19 :: v_dual_add_f32 v11, v0, v33
	v_add_f32_e32 v25, v4, v15
	ds_load_b128 v[0:3], v40 offset:160
	ds_load_b128 v[4:7], v40 offset:176
	v_add_f32_e32 v22, v8, v23
	s_waitcnt lgkmcnt(1)
	v_add_f32_e32 v0, 0, v0
	s_waitcnt lgkmcnt(0)
	v_add_f32_e32 v4, 0, v4
	s_delay_alu instid0(VALU_DEP_2) | instskip(NEXT) | instid1(VALU_DEP_2)
	v_add_f32_e32 v0, v0, v1
	v_add_f32_e32 v1, v4, v5
	s_delay_alu instid0(VALU_DEP_2) | instskip(NEXT) | instid1(VALU_DEP_2)
	v_add_f32_e32 v0, v0, v2
	v_add_f32_e32 v1, v1, v6
	v_dual_add_f32 v9, v12, v26 :: v_dual_add_f32 v12, 0, v36
	v_add_f32_e32 v26, v10, v31
	s_delay_alu instid0(VALU_DEP_4) | instskip(NEXT) | instid1(VALU_DEP_4)
	v_add_f32_e32 v0, v0, v3
	v_add_f32_e32 v1, v1, v7
	s_delay_alu instid0(VALU_DEP_4)
	v_add_f32_e32 v23, v9, v27
	v_dual_add_f32 v27, v11, v34 :: v_dual_add_f32 v30, v12, v37
	ds_load_b128 v[8:11], v40 offset:192
	ds_load_b128 v[12:15], v40 offset:208
	;; [unrolled: 1-line block ×3, first 2 shown]
	v_dual_mov_b32 v6, 0x3000 :: v_dual_add_f32 v41, v27, v35
	s_waitcnt lgkmcnt(2)
	v_add_f32_e32 v4, 0, v8
	s_waitcnt lgkmcnt(1)
	v_add_f32_e32 v5, 0, v12
	;; [unrolled: 2-line block ×3, first 2 shown]
	v_add_f32_e32 v4, v4, v9
	s_delay_alu instid0(VALU_DEP_3) | instskip(NEXT) | instid1(VALU_DEP_3)
	v_add_f32_e32 v2, v5, v13
	v_add_f32_e32 v5, v8, v17
	s_delay_alu instid0(VALU_DEP_3) | instskip(NEXT) | instid1(VALU_DEP_3)
	v_add_f32_e32 v4, v4, v10
	v_add_f32_e32 v2, v2, v14
	s_delay_alu instid0(VALU_DEP_3)
	v_add_f32_e32 v3, v5, v18
	s_clause 0x7
	global_store_b32 v40, v20, s[0:1]
	global_store_b32 v40, v21, s[0:1] offset:1024
	global_store_b32 v40, v24, s[0:1] offset:2048
	;; [unrolled: 1-line block ×3, first 2 shown]
	global_store_b32 v29, v28, s[0:1]
	global_store_b32 v29, v22, s[0:1] offset:1024
	global_store_b32 v29, v23, s[0:1] offset:2048
	;; [unrolled: 1-line block ×3, first 2 shown]
	v_add_f32_e32 v20, v30, v38
	ds_load_b128 v[24:27], v40 offset:256
	v_add_f32_e32 v4, v4, v11
	v_add_f32_e32 v2, v2, v15
	;; [unrolled: 1-line block ×4, first 2 shown]
	ds_load_b128 v[20:23], v40 offset:240
	ds_load_b128 v[28:31], v40 offset:272
	;; [unrolled: 1-line block ×4, first 2 shown]
	v_mov_b32_e32 v11, 0x4000
	s_waitcnt lgkmcnt(4)
	v_add_f32_e32 v7, 0, v24
	s_waitcnt lgkmcnt(2)
	v_add_f32_e32 v8, 0, v28
	v_add_f32_e32 v5, 0, v20
	s_waitcnt lgkmcnt(1)
	v_add_f32_e32 v9, 0, v32
	s_waitcnt lgkmcnt(0)
	v_dual_add_f32 v10, 0, v36 :: v_dual_add_f32 v7, v7, v25
	v_add_f32_e32 v8, v8, v29
	v_add_f32_e32 v5, v5, v21
	;; [unrolled: 1-line block ×3, first 2 shown]
	s_delay_alu instid0(VALU_DEP_4) | instskip(SKIP_1) | instid1(VALU_DEP_4)
	v_add_f32_e32 v10, v10, v37
	v_dual_mov_b32 v42, 0x2000 :: v_dual_add_f32 v7, v7, v26
	v_add_f32_e32 v5, v5, v22
	v_add_f32_e32 v8, v8, v30
	;; [unrolled: 1-line block ×3, first 2 shown]
	s_delay_alu instid0(VALU_DEP_4) | instskip(NEXT) | instid1(VALU_DEP_4)
	v_dual_add_f32 v10, v10, v38 :: v_dual_add_f32 v7, v7, v27
	v_add_f32_e32 v5, v5, v23
	s_delay_alu instid0(VALU_DEP_4) | instskip(NEXT) | instid1(VALU_DEP_4)
	v_add_f32_e32 v8, v8, v31
	v_add_f32_e32 v9, v9, v35
	s_delay_alu instid0(VALU_DEP_4)
	v_add_f32_e32 v10, v10, v39
	s_clause 0xb
	global_store_b32 v42, v41, s[0:1]
	global_store_b32 v42, v43, s[0:1] offset:1024
	global_store_b32 v42, v0, s[0:1] offset:2048
	global_store_b32 v42, v1, s[0:1] offset:3072
	global_store_b32 v6, v4, s[0:1]
	global_store_b32 v6, v2, s[0:1] offset:1024
	global_store_b32 v6, v3, s[0:1] offset:2048
	global_store_b32 v6, v5, s[0:1] offset:3072
	;; [unrolled: 4-line block ×3, first 2 shown]
.LBB19_44:
	s_nop 0
	s_sendmsg sendmsg(MSG_DEALLOC_VGPRS)
	s_endpgm
	.section	.rodata,"a",@progbits
	.p2align	6, 0x0
	.amdhsa_kernel _Z23fp32_router_gemm_kernelIfLi128ELi20ELi256ELi3072EEvPfPKT_PKf
		.amdhsa_group_segment_fixed_size 320
		.amdhsa_private_segment_fixed_size 0
		.amdhsa_kernarg_size 24
		.amdhsa_user_sgpr_count 15
		.amdhsa_user_sgpr_dispatch_ptr 0
		.amdhsa_user_sgpr_queue_ptr 0
		.amdhsa_user_sgpr_kernarg_segment_ptr 1
		.amdhsa_user_sgpr_dispatch_id 0
		.amdhsa_user_sgpr_private_segment_size 0
		.amdhsa_wavefront_size32 1
		.amdhsa_uses_dynamic_stack 0
		.amdhsa_enable_private_segment 0
		.amdhsa_system_sgpr_workgroup_id_x 1
		.amdhsa_system_sgpr_workgroup_id_y 0
		.amdhsa_system_sgpr_workgroup_id_z 0
		.amdhsa_system_sgpr_workgroup_info 0
		.amdhsa_system_vgpr_workitem_id 0
		.amdhsa_next_free_vgpr 93
		.amdhsa_next_free_sgpr 16
		.amdhsa_reserve_vcc 1
		.amdhsa_float_round_mode_32 0
		.amdhsa_float_round_mode_16_64 0
		.amdhsa_float_denorm_mode_32 3
		.amdhsa_float_denorm_mode_16_64 3
		.amdhsa_dx10_clamp 1
		.amdhsa_ieee_mode 1
		.amdhsa_fp16_overflow 0
		.amdhsa_workgroup_processor_mode 1
		.amdhsa_memory_ordered 1
		.amdhsa_forward_progress 0
		.amdhsa_shared_vgpr_count 0
		.amdhsa_exception_fp_ieee_invalid_op 0
		.amdhsa_exception_fp_denorm_src 0
		.amdhsa_exception_fp_ieee_div_zero 0
		.amdhsa_exception_fp_ieee_overflow 0
		.amdhsa_exception_fp_ieee_underflow 0
		.amdhsa_exception_fp_ieee_inexact 0
		.amdhsa_exception_int_div_zero 0
	.end_amdhsa_kernel
	.section	.text._Z23fp32_router_gemm_kernelIfLi128ELi20ELi256ELi3072EEvPfPKT_PKf,"axG",@progbits,_Z23fp32_router_gemm_kernelIfLi128ELi20ELi256ELi3072EEvPfPKT_PKf,comdat
.Lfunc_end19:
	.size	_Z23fp32_router_gemm_kernelIfLi128ELi20ELi256ELi3072EEvPfPKT_PKf, .Lfunc_end19-_Z23fp32_router_gemm_kernelIfLi128ELi20ELi256ELi3072EEvPfPKT_PKf
                                        ; -- End function
	.section	.AMDGPU.csdata,"",@progbits
; Kernel info:
; codeLenInByte = 4160
; NumSgprs: 18
; NumVgprs: 93
; ScratchSize: 0
; MemoryBound: 0
; FloatMode: 240
; IeeeMode: 1
; LDSByteSize: 320 bytes/workgroup (compile time only)
; SGPRBlocks: 2
; VGPRBlocks: 11
; NumSGPRsForWavesPerEU: 18
; NumVGPRsForWavesPerEU: 93
; Occupancy: 16
; WaveLimiterHint : 1
; COMPUTE_PGM_RSRC2:SCRATCH_EN: 0
; COMPUTE_PGM_RSRC2:USER_SGPR: 15
; COMPUTE_PGM_RSRC2:TRAP_HANDLER: 0
; COMPUTE_PGM_RSRC2:TGID_X_EN: 1
; COMPUTE_PGM_RSRC2:TGID_Y_EN: 0
; COMPUTE_PGM_RSRC2:TGID_Z_EN: 0
; COMPUTE_PGM_RSRC2:TIDIG_COMP_CNT: 0
	.section	.text._Z23fp32_router_gemm_kernelIfLi128ELi21ELi256ELi3072EEvPfPKT_PKf,"axG",@progbits,_Z23fp32_router_gemm_kernelIfLi128ELi21ELi256ELi3072EEvPfPKT_PKf,comdat
	.protected	_Z23fp32_router_gemm_kernelIfLi128ELi21ELi256ELi3072EEvPfPKT_PKf ; -- Begin function _Z23fp32_router_gemm_kernelIfLi128ELi21ELi256ELi3072EEvPfPKT_PKf
	.globl	_Z23fp32_router_gemm_kernelIfLi128ELi21ELi256ELi3072EEvPfPKT_PKf
	.p2align	8
	.type	_Z23fp32_router_gemm_kernelIfLi128ELi21ELi256ELi3072EEvPfPKT_PKf,@function
_Z23fp32_router_gemm_kernelIfLi128ELi21ELi256ELi3072EEvPfPKT_PKf: ; @_Z23fp32_router_gemm_kernelIfLi128ELi21ELi256ELi3072EEvPfPKT_PKf
; %bb.0:
	s_clause 0x1
	s_load_b128 s[4:7], s[0:1], 0x0
	s_load_b64 s[0:1], s[0:1], 0x10
	v_dual_mov_b32 v21, 0 :: v_dual_lshlrev_b32 v22, 2, v0
	s_mul_i32 s8, s15, 0xc00
	v_dual_mov_b32 v20, 0 :: v_dual_mov_b32 v19, 0
	s_ashr_i32 s9, s8, 31
	s_delay_alu instid0(VALU_DEP_2)
	v_or_b32_e32 v23, 0x200, v22
	v_or_b32_e32 v24, 0x400, v22
	;; [unrolled: 1-line block ×5, first 2 shown]
	s_lshl_b64 s[8:9], s[8:9], 2
	v_dual_mov_b32 v18, 0 :: v_dual_mov_b32 v17, 0
	v_dual_mov_b32 v16, 0 :: v_dual_mov_b32 v15, 0
	;; [unrolled: 1-line block ×9, first 2 shown]
	s_waitcnt lgkmcnt(0)
	s_add_u32 s0, s0, s8
	s_mov_b32 s2, s15
	s_addc_u32 s1, s1, s9
	s_mov_b64 s[8:9], 0
.LBB20_1:                               ; =>This Inner Loop Header: Depth=1
	s_delay_alu instid0(SALU_CYCLE_1)
	s_cmp_eq_u32 s8, 1
	s_cselect_b32 vcc_lo, -1, 0
	s_cmp_eq_u32 s8, 2
	v_cndmask_b32_e32 v28, v22, v23, vcc_lo
	s_cselect_b32 vcc_lo, -1, 0
	s_cmp_eq_u32 s8, 3
	s_delay_alu instid0(VALU_DEP_1) | instskip(SKIP_2) | instid1(VALU_DEP_1)
	v_cndmask_b32_e32 v28, v28, v24, vcc_lo
	s_cselect_b32 vcc_lo, -1, 0
	s_cmp_eq_u32 s8, 4
	v_cndmask_b32_e32 v28, v28, v25, vcc_lo
	s_cselect_b32 vcc_lo, -1, 0
	s_cmp_eq_u32 s8, 5
	s_delay_alu instid0(VALU_DEP_1)
	v_cndmask_b32_e32 v28, v28, v26, vcc_lo
	s_cselect_b32 vcc_lo, -1, 0
	s_add_u32 s8, s8, 1
	s_addc_u32 s9, s9, 0
	s_cmp_eq_u32 s8, 6
	v_cndmask_b32_e32 v28, v28, v27, vcc_lo
	s_delay_alu instid0(VALU_DEP_1) | instskip(NEXT) | instid1(VALU_DEP_1)
	v_lshlrev_b32_e32 v32, 2, v28
	v_add_co_u32 v38, s3, s6, v32
	s_delay_alu instid0(VALU_DEP_1)
	v_add_co_ci_u32_e64 v39, null, s7, 0, s3
	s_clause 0x1
	global_load_b128 v[28:31], v32, s[0:1]
	global_load_b128 v[32:35], v32, s[6:7]
	v_add_co_u32 v36, vcc_lo, 0x3000, v38
	v_add_co_ci_u32_e32 v37, vcc_lo, 0, v39, vcc_lo
	v_add_co_u32 v40, vcc_lo, 0x6000, v38
	v_add_co_ci_u32_e32 v41, vcc_lo, 0, v39, vcc_lo
	;; [unrolled: 2-line block ×20, first 2 shown]
	s_clause 0x7
	global_load_b128 v[36:39], v[36:37], off
	global_load_b128 v[40:43], v[40:41], off
	;; [unrolled: 1-line block ×8, first 2 shown]
	s_waitcnt vmcnt(6)
	v_fmac_f32_e32 v19, v40, v28
	s_waitcnt vmcnt(3)
	v_fmac_f32_e32 v16, v52, v28
	v_fmac_f32_e32 v17, v48, v28
	s_delay_alu instid0(VALU_DEP_3)
	v_fmac_f32_e32 v19, v41, v29
	s_waitcnt vmcnt(2)
	v_fmac_f32_e32 v15, v56, v28
	s_waitcnt vmcnt(0)
	v_dual_fmac_f32 v13, v64, v28 :: v_dual_fmac_f32 v16, v53, v29
	v_dual_fmac_f32 v20, v36, v28 :: v_dual_fmac_f32 v17, v49, v29
	v_fmac_f32_e32 v21, v32, v28
	v_dual_fmac_f32 v19, v42, v30 :: v_dual_fmac_f32 v14, v60, v28
	s_delay_alu instid0(VALU_DEP_4) | instskip(NEXT) | instid1(VALU_DEP_4)
	v_fmac_f32_e32 v13, v65, v29
	v_fmac_f32_e32 v20, v37, v29
	s_delay_alu instid0(VALU_DEP_4) | instskip(SKIP_1) | instid1(VALU_DEP_3)
	v_fmac_f32_e32 v21, v33, v29
	v_dual_fmac_f32 v17, v50, v30 :: v_dual_fmac_f32 v18, v44, v28
	v_dual_fmac_f32 v19, v43, v31 :: v_dual_fmac_f32 v20, v38, v30
	s_delay_alu instid0(VALU_DEP_3) | instskip(NEXT) | instid1(VALU_DEP_3)
	v_fmac_f32_e32 v21, v34, v30
	v_dual_fmac_f32 v17, v51, v31 :: v_dual_fmac_f32 v18, v45, v29
	s_delay_alu instid0(VALU_DEP_3) | instskip(NEXT) | instid1(VALU_DEP_3)
	v_dual_fmac_f32 v15, v57, v29 :: v_dual_fmac_f32 v20, v39, v31
	v_fmac_f32_e32 v21, v35, v31
	s_clause 0x3
	global_load_b128 v[32:35], v[68:69], off
	global_load_b128 v[68:71], v[70:71], off
	;; [unrolled: 1-line block ×4, first 2 shown]
	v_fmac_f32_e32 v18, v46, v30
	v_fmac_f32_e32 v16, v54, v30
	s_clause 0x1
	global_load_b128 v[40:43], v[76:77], off
	global_load_b128 v[76:79], v[78:79], off
	v_dual_fmac_f32 v14, v61, v29 :: v_dual_fmac_f32 v15, v58, v30
	v_fmac_f32_e32 v18, v47, v31
	s_clause 0x3
	global_load_b128 v[44:47], v[80:81], off
	global_load_b128 v[80:83], v[82:83], off
	;; [unrolled: 1-line block ×4, first 2 shown]
	v_dual_fmac_f32 v14, v62, v30 :: v_dual_fmac_f32 v15, v59, v31
	s_delay_alu instid0(VALU_DEP_1) | instskip(NEXT) | instid1(VALU_DEP_1)
	v_dual_fmac_f32 v13, v66, v30 :: v_dual_fmac_f32 v14, v63, v31
	v_fmac_f32_e32 v13, v67, v31
	s_waitcnt vmcnt(8)
	v_fmac_f32_e32 v11, v68, v28
	s_waitcnt vmcnt(6)
	v_dual_fmac_f32 v9, v72, v28 :: v_dual_fmac_f32 v16, v55, v31
	s_clause 0x1
	global_load_b128 v[52:55], v[88:89], off
	global_load_b128 v[88:91], v[90:91], off
	s_waitcnt vmcnt(6)
	v_fmac_f32_e32 v7, v76, v28
	v_dual_fmac_f32 v12, v32, v28 :: v_dual_fmac_f32 v11, v69, v29
	v_dual_fmac_f32 v10, v36, v28 :: v_dual_fmac_f32 v9, v73, v29
	s_delay_alu instid0(VALU_DEP_3)
	v_dual_fmac_f32 v8, v40, v28 :: v_dual_fmac_f32 v7, v77, v29
	s_waitcnt vmcnt(4)
	v_fmac_f32_e32 v5, v80, v28
	v_fmac_f32_e32 v6, v44, v28
	s_waitcnt vmcnt(2)
	v_dual_fmac_f32 v3, v84, v28 :: v_dual_fmac_f32 v12, v33, v29
	v_fmac_f32_e32 v4, v48, v28
	v_fmac_f32_e32 v8, v41, v29
	;; [unrolled: 1-line block ×5, first 2 shown]
	v_dual_fmac_f32 v4, v49, v29 :: v_dual_fmac_f32 v11, v70, v30
	v_fmac_f32_e32 v12, v34, v30
	v_fmac_f32_e32 v7, v78, v30
	;; [unrolled: 1-line block ×3, first 2 shown]
	v_dual_fmac_f32 v5, v82, v30 :: v_dual_fmac_f32 v10, v37, v29
	s_delay_alu instid0(VALU_DEP_4) | instskip(NEXT) | instid1(VALU_DEP_4)
	v_fmac_f32_e32 v12, v35, v31
	v_dual_fmac_f32 v4, v50, v30 :: v_dual_fmac_f32 v7, v79, v31
	s_delay_alu instid0(VALU_DEP_3) | instskip(SKIP_4) | instid1(VALU_DEP_3)
	v_fmac_f32_e32 v5, v83, v31
	v_fmac_f32_e32 v6, v47, v31
	v_dual_fmac_f32 v10, v38, v30 :: v_dual_fmac_f32 v11, v71, v31
	v_fmac_f32_e32 v9, v74, v30
	v_fmac_f32_e32 v8, v42, v30
	v_dual_fmac_f32 v3, v86, v30 :: v_dual_fmac_f32 v10, v39, v31
	v_fmac_f32_e32 v4, v51, v31
	s_delay_alu instid0(VALU_DEP_4) | instskip(NEXT) | instid1(VALU_DEP_4)
	v_fmac_f32_e32 v9, v75, v31
	v_fmac_f32_e32 v8, v43, v31
	s_delay_alu instid0(VALU_DEP_4) | instskip(SKIP_2) | instid1(VALU_DEP_1)
	v_fmac_f32_e32 v3, v87, v31
	s_waitcnt vmcnt(0)
	v_fmac_f32_e32 v1, v88, v28
	v_dual_fmac_f32 v2, v52, v28 :: v_dual_fmac_f32 v1, v89, v29
	s_delay_alu instid0(VALU_DEP_1) | instskip(NEXT) | instid1(VALU_DEP_1)
	v_dual_fmac_f32 v2, v53, v29 :: v_dual_fmac_f32 v1, v90, v30
	v_dual_fmac_f32 v2, v54, v30 :: v_dual_fmac_f32 v1, v91, v31
	s_delay_alu instid0(VALU_DEP_1)
	v_fmac_f32_e32 v2, v55, v31
	s_cbranch_scc0 .LBB20_1
; %bb.2:
	v_mbcnt_lo_u32_b32 v25, -1, 0
	v_lshrrev_b32_e32 v29, 5, v0
	s_delay_alu instid0(VALU_DEP_2) | instskip(SKIP_1) | instid1(VALU_DEP_2)
	v_xor_b32_e32 v22, 16, v25
	v_xor_b32_e32 v23, 8, v25
	v_cmp_gt_i32_e32 vcc_lo, 32, v22
	v_cndmask_b32_e32 v22, v25, v22, vcc_lo
	s_delay_alu instid0(VALU_DEP_3) | instskip(SKIP_1) | instid1(VALU_DEP_1)
	v_cmp_gt_i32_e32 vcc_lo, 32, v23
	v_cndmask_b32_e32 v23, v25, v23, vcc_lo
	v_lshlrev_b32_e32 v23, 2, v23
	s_delay_alu instid0(VALU_DEP_4) | instskip(SKIP_4) | instid1(VALU_DEP_1)
	v_lshlrev_b32_e32 v22, 2, v22
	ds_bpermute_b32 v24, v22, v21
	s_waitcnt lgkmcnt(0)
	v_add_f32_e32 v24, v21, v24
	v_xor_b32_e32 v21, 4, v25
	v_cmp_gt_i32_e32 vcc_lo, 32, v21
	v_cndmask_b32_e32 v21, v25, v21, vcc_lo
	s_delay_alu instid0(VALU_DEP_1)
	v_lshlrev_b32_e32 v21, 2, v21
	ds_bpermute_b32 v26, v23, v24
	s_waitcnt lgkmcnt(0)
	v_add_f32_e32 v26, v24, v26
	v_xor_b32_e32 v24, 2, v25
	ds_bpermute_b32 v27, v21, v26
	v_cmp_gt_i32_e32 vcc_lo, 32, v24
	s_waitcnt lgkmcnt(0)
	v_dual_cndmask_b32 v24, v25, v24 :: v_dual_add_f32 v27, v26, v27
	v_xor_b32_e32 v26, 1, v25
	s_delay_alu instid0(VALU_DEP_1) | instskip(NEXT) | instid1(VALU_DEP_3)
	v_cmp_gt_i32_e32 vcc_lo, 32, v26
	v_dual_cndmask_b32 v25, v25, v26 :: v_dual_lshlrev_b32 v24, 2, v24
	ds_bpermute_b32 v28, v24, v27
	v_lshlrev_b32_e32 v26, 2, v25
	v_and_b32_e32 v25, 31, v0
	s_delay_alu instid0(VALU_DEP_1)
	v_cmp_eq_u32_e32 vcc_lo, 0, v25
	v_lshlrev_b32_e32 v25, 2, v29
	s_waitcnt lgkmcnt(0)
	v_add_f32_e32 v27, v27, v28
	ds_bpermute_b32 v28, v26, v27
	s_and_saveexec_b32 s0, vcc_lo
	s_cbranch_execz .LBB20_4
; %bb.3:
	s_waitcnt lgkmcnt(0)
	v_add_f32_e32 v27, v27, v28
	ds_store_b32 v25, v27
.LBB20_4:
	s_or_b32 exec_lo, exec_lo, s0
	ds_bpermute_b32 v27, v22, v20
	s_waitcnt lgkmcnt(0)
	v_add_f32_e32 v20, v20, v27
	ds_bpermute_b32 v27, v23, v20
	s_waitcnt lgkmcnt(0)
	v_add_f32_e32 v20, v20, v27
	ds_bpermute_b32 v27, v21, v20
	s_waitcnt lgkmcnt(0)
	v_add_f32_e32 v20, v20, v27
	ds_bpermute_b32 v27, v24, v20
	s_waitcnt lgkmcnt(0)
	v_add_f32_e32 v20, v20, v27
	ds_bpermute_b32 v27, v26, v20
	s_and_saveexec_b32 s0, vcc_lo
	s_cbranch_execz .LBB20_6
; %bb.5:
	s_waitcnt lgkmcnt(0)
	v_add_f32_e32 v20, v20, v27
	ds_store_b32 v25, v20 offset:16
.LBB20_6:
	s_or_b32 exec_lo, exec_lo, s0
	ds_bpermute_b32 v20, v22, v19
	s_waitcnt lgkmcnt(0)
	v_add_f32_e32 v19, v19, v20
	ds_bpermute_b32 v20, v23, v19
	s_waitcnt lgkmcnt(0)
	v_add_f32_e32 v19, v19, v20
	ds_bpermute_b32 v20, v21, v19
	s_waitcnt lgkmcnt(0)
	v_add_f32_e32 v19, v19, v20
	ds_bpermute_b32 v20, v24, v19
	s_waitcnt lgkmcnt(0)
	v_add_f32_e32 v19, v19, v20
	ds_bpermute_b32 v20, v26, v19
	s_and_saveexec_b32 s0, vcc_lo
	s_cbranch_execz .LBB20_8
; %bb.7:
	s_waitcnt lgkmcnt(0)
	v_add_f32_e32 v19, v19, v20
	ds_store_b32 v25, v19 offset:32
.LBB20_8:
	s_or_b32 exec_lo, exec_lo, s0
	ds_bpermute_b32 v19, v22, v18
	s_waitcnt lgkmcnt(0)
	v_add_f32_e32 v18, v18, v19
	ds_bpermute_b32 v19, v23, v18
	s_waitcnt lgkmcnt(0)
	v_add_f32_e32 v18, v18, v19
	ds_bpermute_b32 v19, v21, v18
	s_waitcnt lgkmcnt(0)
	v_add_f32_e32 v18, v18, v19
	ds_bpermute_b32 v19, v24, v18
	s_waitcnt lgkmcnt(0)
	v_add_f32_e32 v18, v18, v19
	ds_bpermute_b32 v19, v26, v18
	s_and_saveexec_b32 s0, vcc_lo
	s_cbranch_execz .LBB20_10
; %bb.9:
	s_waitcnt lgkmcnt(0)
	v_add_f32_e32 v18, v18, v19
	ds_store_b32 v25, v18 offset:48
.LBB20_10:
	s_or_b32 exec_lo, exec_lo, s0
	ds_bpermute_b32 v18, v22, v17
	s_waitcnt lgkmcnt(0)
	v_add_f32_e32 v17, v17, v18
	ds_bpermute_b32 v18, v23, v17
	s_waitcnt lgkmcnt(0)
	v_add_f32_e32 v17, v17, v18
	ds_bpermute_b32 v18, v21, v17
	s_waitcnt lgkmcnt(0)
	v_add_f32_e32 v17, v17, v18
	ds_bpermute_b32 v18, v24, v17
	s_waitcnt lgkmcnt(0)
	v_add_f32_e32 v17, v17, v18
	ds_bpermute_b32 v18, v26, v17
	s_and_saveexec_b32 s0, vcc_lo
	s_cbranch_execz .LBB20_12
; %bb.11:
	s_waitcnt lgkmcnt(0)
	v_add_f32_e32 v17, v17, v18
	ds_store_b32 v25, v17 offset:64
.LBB20_12:
	s_or_b32 exec_lo, exec_lo, s0
	ds_bpermute_b32 v17, v22, v16
	s_waitcnt lgkmcnt(0)
	v_add_f32_e32 v16, v16, v17
	ds_bpermute_b32 v17, v23, v16
	s_waitcnt lgkmcnt(0)
	v_add_f32_e32 v16, v16, v17
	ds_bpermute_b32 v17, v21, v16
	s_waitcnt lgkmcnt(0)
	v_add_f32_e32 v16, v16, v17
	ds_bpermute_b32 v17, v24, v16
	s_waitcnt lgkmcnt(0)
	v_add_f32_e32 v16, v16, v17
	ds_bpermute_b32 v17, v26, v16
	s_and_saveexec_b32 s0, vcc_lo
	s_cbranch_execz .LBB20_14
; %bb.13:
	s_waitcnt lgkmcnt(0)
	v_add_f32_e32 v16, v16, v17
	ds_store_b32 v25, v16 offset:80
.LBB20_14:
	s_or_b32 exec_lo, exec_lo, s0
	ds_bpermute_b32 v16, v22, v15
	s_waitcnt lgkmcnt(0)
	v_add_f32_e32 v15, v15, v16
	ds_bpermute_b32 v16, v23, v15
	s_waitcnt lgkmcnt(0)
	v_add_f32_e32 v15, v15, v16
	ds_bpermute_b32 v16, v21, v15
	s_waitcnt lgkmcnt(0)
	v_add_f32_e32 v15, v15, v16
	ds_bpermute_b32 v16, v24, v15
	s_waitcnt lgkmcnt(0)
	v_add_f32_e32 v15, v15, v16
	ds_bpermute_b32 v16, v26, v15
	s_and_saveexec_b32 s0, vcc_lo
	s_cbranch_execz .LBB20_16
; %bb.15:
	s_waitcnt lgkmcnt(0)
	v_add_f32_e32 v15, v15, v16
	ds_store_b32 v25, v15 offset:96
.LBB20_16:
	s_or_b32 exec_lo, exec_lo, s0
	ds_bpermute_b32 v15, v22, v14
	s_waitcnt lgkmcnt(0)
	v_add_f32_e32 v14, v14, v15
	ds_bpermute_b32 v15, v23, v14
	s_waitcnt lgkmcnt(0)
	v_add_f32_e32 v14, v14, v15
	ds_bpermute_b32 v15, v21, v14
	s_waitcnt lgkmcnt(0)
	v_add_f32_e32 v14, v14, v15
	ds_bpermute_b32 v15, v24, v14
	s_waitcnt lgkmcnt(0)
	v_add_f32_e32 v14, v14, v15
	ds_bpermute_b32 v15, v26, v14
	s_and_saveexec_b32 s0, vcc_lo
	s_cbranch_execz .LBB20_18
; %bb.17:
	s_waitcnt lgkmcnt(0)
	v_add_f32_e32 v14, v14, v15
	ds_store_b32 v25, v14 offset:112
.LBB20_18:
	s_or_b32 exec_lo, exec_lo, s0
	ds_bpermute_b32 v14, v22, v13
	s_waitcnt lgkmcnt(0)
	v_add_f32_e32 v13, v13, v14
	ds_bpermute_b32 v14, v23, v13
	s_waitcnt lgkmcnt(0)
	v_add_f32_e32 v13, v13, v14
	ds_bpermute_b32 v14, v21, v13
	s_waitcnt lgkmcnt(0)
	v_add_f32_e32 v13, v13, v14
	ds_bpermute_b32 v14, v24, v13
	s_waitcnt lgkmcnt(0)
	v_add_f32_e32 v13, v13, v14
	ds_bpermute_b32 v14, v26, v13
	s_and_saveexec_b32 s0, vcc_lo
	s_cbranch_execz .LBB20_20
; %bb.19:
	s_waitcnt lgkmcnt(0)
	v_add_f32_e32 v13, v13, v14
	ds_store_b32 v25, v13 offset:128
.LBB20_20:
	s_or_b32 exec_lo, exec_lo, s0
	ds_bpermute_b32 v13, v22, v12
	s_waitcnt lgkmcnt(0)
	v_add_f32_e32 v12, v12, v13
	ds_bpermute_b32 v13, v23, v12
	s_waitcnt lgkmcnt(0)
	v_add_f32_e32 v12, v12, v13
	ds_bpermute_b32 v13, v21, v12
	s_waitcnt lgkmcnt(0)
	v_add_f32_e32 v12, v12, v13
	ds_bpermute_b32 v13, v24, v12
	s_waitcnt lgkmcnt(0)
	v_add_f32_e32 v12, v12, v13
	ds_bpermute_b32 v13, v26, v12
	s_and_saveexec_b32 s0, vcc_lo
	s_cbranch_execz .LBB20_22
; %bb.21:
	s_waitcnt lgkmcnt(0)
	v_add_f32_e32 v12, v12, v13
	ds_store_b32 v25, v12 offset:144
.LBB20_22:
	s_or_b32 exec_lo, exec_lo, s0
	ds_bpermute_b32 v12, v22, v11
	s_waitcnt lgkmcnt(0)
	v_add_f32_e32 v11, v11, v12
	ds_bpermute_b32 v12, v23, v11
	s_waitcnt lgkmcnt(0)
	v_add_f32_e32 v11, v11, v12
	ds_bpermute_b32 v12, v21, v11
	s_waitcnt lgkmcnt(0)
	v_add_f32_e32 v11, v11, v12
	ds_bpermute_b32 v12, v24, v11
	s_waitcnt lgkmcnt(0)
	v_add_f32_e32 v11, v11, v12
	ds_bpermute_b32 v12, v26, v11
	s_and_saveexec_b32 s0, vcc_lo
	s_cbranch_execz .LBB20_24
; %bb.23:
	s_waitcnt lgkmcnt(0)
	v_add_f32_e32 v11, v11, v12
	ds_store_b32 v25, v11 offset:160
.LBB20_24:
	s_or_b32 exec_lo, exec_lo, s0
	ds_bpermute_b32 v11, v22, v10
	s_waitcnt lgkmcnt(0)
	v_add_f32_e32 v10, v10, v11
	ds_bpermute_b32 v11, v23, v10
	s_waitcnt lgkmcnt(0)
	v_add_f32_e32 v10, v10, v11
	ds_bpermute_b32 v11, v21, v10
	s_waitcnt lgkmcnt(0)
	v_add_f32_e32 v10, v10, v11
	ds_bpermute_b32 v11, v24, v10
	s_waitcnt lgkmcnt(0)
	v_add_f32_e32 v10, v10, v11
	ds_bpermute_b32 v11, v26, v10
	s_and_saveexec_b32 s0, vcc_lo
	s_cbranch_execz .LBB20_26
; %bb.25:
	s_waitcnt lgkmcnt(0)
	v_add_f32_e32 v10, v10, v11
	ds_store_b32 v25, v10 offset:176
.LBB20_26:
	s_or_b32 exec_lo, exec_lo, s0
	ds_bpermute_b32 v10, v22, v9
	s_waitcnt lgkmcnt(0)
	v_add_f32_e32 v9, v9, v10
	ds_bpermute_b32 v10, v23, v9
	s_waitcnt lgkmcnt(0)
	v_add_f32_e32 v9, v9, v10
	ds_bpermute_b32 v10, v21, v9
	s_waitcnt lgkmcnt(0)
	v_add_f32_e32 v9, v9, v10
	ds_bpermute_b32 v10, v24, v9
	s_waitcnt lgkmcnt(0)
	v_add_f32_e32 v9, v9, v10
	ds_bpermute_b32 v10, v26, v9
	s_and_saveexec_b32 s0, vcc_lo
	s_cbranch_execz .LBB20_28
; %bb.27:
	s_waitcnt lgkmcnt(0)
	v_add_f32_e32 v9, v9, v10
	ds_store_b32 v25, v9 offset:192
.LBB20_28:
	s_or_b32 exec_lo, exec_lo, s0
	ds_bpermute_b32 v9, v22, v8
	s_waitcnt lgkmcnt(0)
	v_add_f32_e32 v8, v8, v9
	ds_bpermute_b32 v9, v23, v8
	s_waitcnt lgkmcnt(0)
	v_add_f32_e32 v8, v8, v9
	ds_bpermute_b32 v9, v21, v8
	s_waitcnt lgkmcnt(0)
	v_add_f32_e32 v8, v8, v9
	ds_bpermute_b32 v9, v24, v8
	s_waitcnt lgkmcnt(0)
	v_add_f32_e32 v8, v8, v9
	ds_bpermute_b32 v9, v26, v8
	s_and_saveexec_b32 s0, vcc_lo
	s_cbranch_execz .LBB20_30
; %bb.29:
	s_waitcnt lgkmcnt(0)
	v_add_f32_e32 v8, v8, v9
	ds_store_b32 v25, v8 offset:208
.LBB20_30:
	s_or_b32 exec_lo, exec_lo, s0
	ds_bpermute_b32 v8, v22, v7
	s_waitcnt lgkmcnt(0)
	v_add_f32_e32 v7, v7, v8
	ds_bpermute_b32 v8, v23, v7
	s_waitcnt lgkmcnt(0)
	v_add_f32_e32 v7, v7, v8
	ds_bpermute_b32 v8, v21, v7
	s_waitcnt lgkmcnt(0)
	v_add_f32_e32 v7, v7, v8
	ds_bpermute_b32 v8, v24, v7
	s_waitcnt lgkmcnt(0)
	v_add_f32_e32 v7, v7, v8
	ds_bpermute_b32 v8, v26, v7
	s_and_saveexec_b32 s0, vcc_lo
	s_cbranch_execz .LBB20_32
; %bb.31:
	s_waitcnt lgkmcnt(0)
	v_add_f32_e32 v7, v7, v8
	ds_store_b32 v25, v7 offset:224
.LBB20_32:
	s_or_b32 exec_lo, exec_lo, s0
	ds_bpermute_b32 v7, v22, v6
	s_waitcnt lgkmcnt(0)
	v_add_f32_e32 v6, v6, v7
	ds_bpermute_b32 v7, v23, v6
	s_waitcnt lgkmcnt(0)
	v_add_f32_e32 v6, v6, v7
	ds_bpermute_b32 v7, v21, v6
	s_waitcnt lgkmcnt(0)
	v_add_f32_e32 v6, v6, v7
	ds_bpermute_b32 v7, v24, v6
	s_waitcnt lgkmcnt(0)
	v_add_f32_e32 v6, v6, v7
	ds_bpermute_b32 v7, v26, v6
	s_and_saveexec_b32 s0, vcc_lo
	s_cbranch_execz .LBB20_34
; %bb.33:
	s_waitcnt lgkmcnt(0)
	v_add_f32_e32 v6, v6, v7
	ds_store_b32 v25, v6 offset:240
.LBB20_34:
	s_or_b32 exec_lo, exec_lo, s0
	ds_bpermute_b32 v6, v22, v5
	s_waitcnt lgkmcnt(0)
	v_add_f32_e32 v5, v5, v6
	ds_bpermute_b32 v6, v23, v5
	s_waitcnt lgkmcnt(0)
	v_add_f32_e32 v5, v5, v6
	ds_bpermute_b32 v6, v21, v5
	s_waitcnt lgkmcnt(0)
	v_add_f32_e32 v5, v5, v6
	ds_bpermute_b32 v6, v24, v5
	s_waitcnt lgkmcnt(0)
	v_add_f32_e32 v5, v5, v6
	ds_bpermute_b32 v6, v26, v5
	s_and_saveexec_b32 s0, vcc_lo
	s_cbranch_execz .LBB20_36
; %bb.35:
	s_waitcnt lgkmcnt(0)
	v_add_f32_e32 v5, v5, v6
	ds_store_b32 v25, v5 offset:256
.LBB20_36:
	s_or_b32 exec_lo, exec_lo, s0
	ds_bpermute_b32 v5, v22, v4
	s_waitcnt lgkmcnt(0)
	v_add_f32_e32 v4, v4, v5
	ds_bpermute_b32 v5, v23, v4
	s_waitcnt lgkmcnt(0)
	v_add_f32_e32 v4, v4, v5
	ds_bpermute_b32 v5, v21, v4
	s_waitcnt lgkmcnt(0)
	v_add_f32_e32 v4, v4, v5
	ds_bpermute_b32 v5, v24, v4
	s_waitcnt lgkmcnt(0)
	v_add_f32_e32 v4, v4, v5
	ds_bpermute_b32 v5, v26, v4
	s_and_saveexec_b32 s0, vcc_lo
	s_cbranch_execz .LBB20_38
; %bb.37:
	s_waitcnt lgkmcnt(0)
	v_add_f32_e32 v4, v4, v5
	ds_store_b32 v25, v4 offset:272
.LBB20_38:
	s_or_b32 exec_lo, exec_lo, s0
	ds_bpermute_b32 v4, v22, v3
	s_waitcnt lgkmcnt(0)
	v_add_f32_e32 v3, v3, v4
	ds_bpermute_b32 v4, v23, v3
	s_waitcnt lgkmcnt(0)
	v_add_f32_e32 v3, v3, v4
	ds_bpermute_b32 v4, v21, v3
	s_waitcnt lgkmcnt(0)
	v_add_f32_e32 v3, v3, v4
	ds_bpermute_b32 v4, v24, v3
	s_waitcnt lgkmcnt(0)
	v_add_f32_e32 v3, v3, v4
	ds_bpermute_b32 v4, v26, v3
	s_and_saveexec_b32 s0, vcc_lo
	s_cbranch_execz .LBB20_40
; %bb.39:
	s_waitcnt lgkmcnt(0)
	v_add_f32_e32 v3, v3, v4
	ds_store_b32 v25, v3 offset:288
.LBB20_40:
	s_or_b32 exec_lo, exec_lo, s0
	ds_bpermute_b32 v3, v22, v2
	s_waitcnt lgkmcnt(0)
	v_add_f32_e32 v2, v2, v3
	ds_bpermute_b32 v3, v23, v2
	s_waitcnt lgkmcnt(0)
	v_add_f32_e32 v2, v2, v3
	ds_bpermute_b32 v3, v21, v2
	s_waitcnt lgkmcnt(0)
	v_add_f32_e32 v2, v2, v3
	ds_bpermute_b32 v3, v24, v2
	s_waitcnt lgkmcnt(0)
	v_add_f32_e32 v2, v2, v3
	ds_bpermute_b32 v3, v26, v2
	s_and_saveexec_b32 s0, vcc_lo
	s_cbranch_execz .LBB20_42
; %bb.41:
	s_waitcnt lgkmcnt(0)
	v_add_f32_e32 v2, v2, v3
	ds_store_b32 v25, v2 offset:304
.LBB20_42:
	s_or_b32 exec_lo, exec_lo, s0
	ds_bpermute_b32 v2, v22, v1
	s_waitcnt lgkmcnt(0)
	v_add_f32_e32 v1, v1, v2
	ds_bpermute_b32 v2, v23, v1
	s_waitcnt lgkmcnt(0)
	v_add_f32_e32 v1, v1, v2
	ds_bpermute_b32 v2, v21, v1
	s_waitcnt lgkmcnt(0)
	v_add_f32_e32 v1, v1, v2
	ds_bpermute_b32 v2, v24, v1
	s_waitcnt lgkmcnt(0)
	v_add_f32_e32 v1, v1, v2
	ds_bpermute_b32 v2, v26, v1
	s_and_saveexec_b32 s0, vcc_lo
	s_cbranch_execz .LBB20_44
; %bb.43:
	s_waitcnt lgkmcnt(0)
	v_add_f32_e32 v1, v1, v2
	ds_store_b32 v25, v1 offset:320
.LBB20_44:
	s_or_b32 exec_lo, exec_lo, s0
	s_waitcnt lgkmcnt(0)
	s_barrier
	buffer_gl0_inv
	s_mov_b32 s0, exec_lo
	v_cmpx_eq_u32_e32 0, v0
	s_cbranch_execz .LBB20_46
; %bb.45:
	v_mov_b32_e32 v44, 0
	s_ashr_i32 s3, s2, 31
	ds_load_b128 v[0:3], v44
	ds_load_b128 v[4:7], v44 offset:16
	ds_load_b128 v[8:11], v44 offset:32
	;; [unrolled: 1-line block ×7, first 2 shown]
	s_lshl_b64 s[0:1], s[2:3], 2
	s_delay_alu instid0(SALU_CYCLE_1)
	s_add_u32 s0, s4, s0
	s_addc_u32 s1, s5, s1
	s_waitcnt lgkmcnt(4)
	v_add_f32_e32 v12, 0, v12
	v_add_f32_e32 v0, 0, v0
	s_waitcnt lgkmcnt(2)
	v_add_f32_e32 v20, 0, v20
	v_add_f32_e32 v4, 0, v4
	s_delay_alu instid0(VALU_DEP_3) | instskip(NEXT) | instid1(VALU_DEP_2)
	v_add_f32_e32 v0, v0, v1
	v_dual_add_f32 v1, v4, v5 :: v_dual_add_f32 v8, 0, v8
	ds_load_b128 v[32:35], v44 offset:128
	ds_load_b128 v[36:39], v44 offset:144
	v_add_f32_e32 v5, v12, v13
	v_add_f32_e32 v0, v0, v2
	v_dual_add_f32 v1, v1, v6 :: v_dual_add_f32 v4, v8, v9
	ds_load_b128 v[40:43], v44 offset:160
	v_add_f32_e32 v16, 0, v16
	v_add_f32_e32 v2, v4, v10
	;; [unrolled: 1-line block ×3, first 2 shown]
	s_delay_alu instid0(VALU_DEP_1) | instskip(SKIP_3) | instid1(VALU_DEP_2)
	v_add_f32_e32 v45, v4, v15
	v_add_f32_e32 v9, v20, v21
	;; [unrolled: 1-line block ×3, first 2 shown]
	s_waitcnt lgkmcnt(1)
	v_dual_add_f32 v7, 0, v36 :: v_dual_add_f32 v6, v9, v22
	v_add_f32_e32 v28, 0, v28
	v_add_f32_e32 v22, v2, v11
	s_delay_alu instid0(VALU_DEP_3) | instskip(NEXT) | instid1(VALU_DEP_3)
	v_dual_add_f32 v2, 0, v32 :: v_dual_add_f32 v23, v6, v23
	v_dual_add_f32 v24, 0, v24 :: v_dual_add_f32 v1, v28, v29
	v_dual_add_f32 v28, v7, v37 :: v_dual_mov_b32 v37, 0x2000
	v_add_f32_e32 v20, v0, v3
	s_delay_alu instid0(VALU_DEP_3) | instskip(SKIP_2) | instid1(VALU_DEP_3)
	v_add_f32_e32 v0, v24, v25
	v_add_f32_e32 v6, v2, v33
	;; [unrolled: 1-line block ×4, first 2 shown]
	s_delay_alu instid0(VALU_DEP_1) | instskip(NEXT) | instid1(VALU_DEP_4)
	v_add_f32_e32 v25, v4, v27
	v_add_f32_e32 v27, v6, v34
	s_delay_alu instid0(VALU_DEP_1) | instskip(NEXT) | instid1(VALU_DEP_1)
	v_dual_add_f32 v5, v8, v18 :: v_dual_add_f32 v36, v27, v35
	v_add_f32_e32 v46, v5, v19
	v_add_f32_e32 v5, v1, v30
	ds_load_b128 v[0:3], v44 offset:176
	s_waitcnt lgkmcnt(1)
	v_add_f32_e32 v8, 0, v40
	s_delay_alu instid0(VALU_DEP_1)
	v_dual_add_f32 v26, v5, v31 :: v_dual_add_f32 v29, v8, v41
	ds_load_b128 v[4:7], v44 offset:192
	ds_load_b128 v[8:11], v44 offset:208
	;; [unrolled: 1-line block ×4, first 2 shown]
	s_waitcnt lgkmcnt(4)
	v_add_f32_e32 v0, 0, v0
	s_waitcnt lgkmcnt(3)
	s_delay_alu instid0(VALU_DEP_1)
	v_dual_add_f32 v0, v0, v1 :: v_dual_add_f32 v1, 0, v4
	s_waitcnt lgkmcnt(2)
	v_add_f32_e32 v4, 0, v8
	s_waitcnt lgkmcnt(1)
	v_add_f32_e32 v8, 0, v12
	v_dual_add_f32 v0, v0, v2 :: v_dual_add_f32 v1, v1, v5
	s_waitcnt lgkmcnt(0)
	v_dual_add_f32 v5, 0, v16 :: v_dual_mov_b32 v24, 0x1000
	v_add_f32_e32 v2, v4, v9
	v_add_f32_e32 v4, v8, v13
	s_delay_alu instid0(VALU_DEP_3)
	v_dual_add_f32 v8, v0, v3 :: v_dual_add_f32 v5, v5, v17
	s_clause 0x7
	global_store_b32 v44, v20, s[0:1]
	global_store_b32 v44, v21, s[0:1] offset:1024
	global_store_b32 v44, v22, s[0:1] offset:2048
	;; [unrolled: 1-line block ×3, first 2 shown]
	global_store_b32 v24, v46, s[0:1]
	global_store_b32 v24, v23, s[0:1] offset:1024
	global_store_b32 v24, v25, s[0:1] offset:2048
	;; [unrolled: 1-line block ×3, first 2 shown]
	v_add_f32_e32 v21, v29, v42
	v_add_f32_e32 v6, v1, v6
	;; [unrolled: 1-line block ×5, first 2 shown]
	s_delay_alu instid0(VALU_DEP_4) | instskip(NEXT) | instid1(VALU_DEP_3)
	v_dual_add_f32 v6, v6, v7 :: v_dual_mov_b32 v7, 0x3000
	v_dual_add_f32 v5, v5, v19 :: v_dual_add_f32 v20, v28, v38
	v_add_f32_e32 v9, v9, v11
	s_delay_alu instid0(VALU_DEP_4) | instskip(NEXT) | instid1(VALU_DEP_3)
	v_add_f32_e32 v4, v4, v15
	v_add_f32_e32 v38, v20, v39
	;; [unrolled: 1-line block ×3, first 2 shown]
	ds_load_b128 v[20:23], v44 offset:256
	ds_load_b128 v[0:3], v44 offset:272
	;; [unrolled: 1-line block ×5, first 2 shown]
	s_clause 0x7
	global_store_b32 v37, v36, s[0:1]
	global_store_b32 v37, v38, s[0:1] offset:1024
	global_store_b32 v37, v39, s[0:1] offset:2048
	;; [unrolled: 1-line block ×3, first 2 shown]
	global_store_b32 v7, v6, s[0:1]
	global_store_b32 v7, v9, s[0:1] offset:1024
	global_store_b32 v7, v4, s[0:1] offset:2048
	;; [unrolled: 1-line block ×3, first 2 shown]
	s_waitcnt lgkmcnt(3)
	v_add_f32_e32 v0, 0, v0
	s_waitcnt lgkmcnt(2)
	v_add_f32_e32 v5, 0, v24
	v_add_f32_e32 v10, 0, v20
	s_waitcnt lgkmcnt(1)
	v_add_f32_e32 v6, 0, v28
	s_waitcnt lgkmcnt(0)
	v_dual_add_f32 v7, 0, v32 :: v_dual_add_f32 v0, v0, v1
	v_add_f32_e32 v1, v5, v25
	v_add_f32_e32 v4, v10, v21
	;; [unrolled: 1-line block ×3, first 2 shown]
	s_delay_alu instid0(VALU_DEP_4)
	v_add_f32_e32 v6, v7, v33
	v_add_f32_e32 v0, v0, v2
	;; [unrolled: 1-line block ×5, first 2 shown]
	v_dual_add_f32 v5, v6, v34 :: v_dual_mov_b32 v6, 0x4000
	v_add_f32_e32 v0, v0, v3
	s_delay_alu instid0(VALU_DEP_4)
	v_add_f32_e32 v4, v4, v23
	v_add_f32_e32 v1, v1, v27
	;; [unrolled: 1-line block ×4, first 2 shown]
	v_mov_b32_e32 v5, 0x5000
	s_clause 0x4
	global_store_b32 v6, v4, s[0:1]
	global_store_b32 v6, v0, s[0:1] offset:1024
	global_store_b32 v6, v1, s[0:1] offset:2048
	;; [unrolled: 1-line block ×3, first 2 shown]
	global_store_b32 v5, v3, s[0:1]
.LBB20_46:
	s_nop 0
	s_sendmsg sendmsg(MSG_DEALLOC_VGPRS)
	s_endpgm
	.section	.rodata,"a",@progbits
	.p2align	6, 0x0
	.amdhsa_kernel _Z23fp32_router_gemm_kernelIfLi128ELi21ELi256ELi3072EEvPfPKT_PKf
		.amdhsa_group_segment_fixed_size 336
		.amdhsa_private_segment_fixed_size 0
		.amdhsa_kernarg_size 24
		.amdhsa_user_sgpr_count 15
		.amdhsa_user_sgpr_dispatch_ptr 0
		.amdhsa_user_sgpr_queue_ptr 0
		.amdhsa_user_sgpr_kernarg_segment_ptr 1
		.amdhsa_user_sgpr_dispatch_id 0
		.amdhsa_user_sgpr_private_segment_size 0
		.amdhsa_wavefront_size32 1
		.amdhsa_uses_dynamic_stack 0
		.amdhsa_enable_private_segment 0
		.amdhsa_system_sgpr_workgroup_id_x 1
		.amdhsa_system_sgpr_workgroup_id_y 0
		.amdhsa_system_sgpr_workgroup_id_z 0
		.amdhsa_system_sgpr_workgroup_info 0
		.amdhsa_system_vgpr_workitem_id 0
		.amdhsa_next_free_vgpr 92
		.amdhsa_next_free_sgpr 16
		.amdhsa_reserve_vcc 1
		.amdhsa_float_round_mode_32 0
		.amdhsa_float_round_mode_16_64 0
		.amdhsa_float_denorm_mode_32 3
		.amdhsa_float_denorm_mode_16_64 3
		.amdhsa_dx10_clamp 1
		.amdhsa_ieee_mode 1
		.amdhsa_fp16_overflow 0
		.amdhsa_workgroup_processor_mode 1
		.amdhsa_memory_ordered 1
		.amdhsa_forward_progress 0
		.amdhsa_shared_vgpr_count 0
		.amdhsa_exception_fp_ieee_invalid_op 0
		.amdhsa_exception_fp_denorm_src 0
		.amdhsa_exception_fp_ieee_div_zero 0
		.amdhsa_exception_fp_ieee_overflow 0
		.amdhsa_exception_fp_ieee_underflow 0
		.amdhsa_exception_fp_ieee_inexact 0
		.amdhsa_exception_int_div_zero 0
	.end_amdhsa_kernel
	.section	.text._Z23fp32_router_gemm_kernelIfLi128ELi21ELi256ELi3072EEvPfPKT_PKf,"axG",@progbits,_Z23fp32_router_gemm_kernelIfLi128ELi21ELi256ELi3072EEvPfPKT_PKf,comdat
.Lfunc_end20:
	.size	_Z23fp32_router_gemm_kernelIfLi128ELi21ELi256ELi3072EEvPfPKT_PKf, .Lfunc_end20-_Z23fp32_router_gemm_kernelIfLi128ELi21ELi256ELi3072EEvPfPKT_PKf
                                        ; -- End function
	.section	.AMDGPU.csdata,"",@progbits
; Kernel info:
; codeLenInByte = 4372
; NumSgprs: 18
; NumVgprs: 92
; ScratchSize: 0
; MemoryBound: 0
; FloatMode: 240
; IeeeMode: 1
; LDSByteSize: 336 bytes/workgroup (compile time only)
; SGPRBlocks: 2
; VGPRBlocks: 11
; NumSGPRsForWavesPerEU: 18
; NumVGPRsForWavesPerEU: 92
; Occupancy: 16
; WaveLimiterHint : 1
; COMPUTE_PGM_RSRC2:SCRATCH_EN: 0
; COMPUTE_PGM_RSRC2:USER_SGPR: 15
; COMPUTE_PGM_RSRC2:TRAP_HANDLER: 0
; COMPUTE_PGM_RSRC2:TGID_X_EN: 1
; COMPUTE_PGM_RSRC2:TGID_Y_EN: 0
; COMPUTE_PGM_RSRC2:TGID_Z_EN: 0
; COMPUTE_PGM_RSRC2:TIDIG_COMP_CNT: 0
	.section	.text._Z23fp32_router_gemm_kernelIfLi128ELi22ELi256ELi3072EEvPfPKT_PKf,"axG",@progbits,_Z23fp32_router_gemm_kernelIfLi128ELi22ELi256ELi3072EEvPfPKT_PKf,comdat
	.protected	_Z23fp32_router_gemm_kernelIfLi128ELi22ELi256ELi3072EEvPfPKT_PKf ; -- Begin function _Z23fp32_router_gemm_kernelIfLi128ELi22ELi256ELi3072EEvPfPKT_PKf
	.globl	_Z23fp32_router_gemm_kernelIfLi128ELi22ELi256ELi3072EEvPfPKT_PKf
	.p2align	8
	.type	_Z23fp32_router_gemm_kernelIfLi128ELi22ELi256ELi3072EEvPfPKT_PKf,@function
_Z23fp32_router_gemm_kernelIfLi128ELi22ELi256ELi3072EEvPfPKT_PKf: ; @_Z23fp32_router_gemm_kernelIfLi128ELi22ELi256ELi3072EEvPfPKT_PKf
; %bb.0:
	s_clause 0x1
	s_load_b128 s[4:7], s[0:1], 0x0
	s_load_b64 s[0:1], s[0:1], 0x10
	v_dual_mov_b32 v22, 0 :: v_dual_lshlrev_b32 v23, 2, v0
	s_mul_i32 s8, s15, 0xc00
	v_dual_mov_b32 v21, 0 :: v_dual_mov_b32 v20, 0
	s_ashr_i32 s9, s8, 31
	s_delay_alu instid0(VALU_DEP_2)
	v_or_b32_e32 v24, 0x200, v23
	v_or_b32_e32 v25, 0x400, v23
	;; [unrolled: 1-line block ×5, first 2 shown]
	s_lshl_b64 s[8:9], s[8:9], 2
	v_dual_mov_b32 v19, 0 :: v_dual_mov_b32 v18, 0
	v_dual_mov_b32 v17, 0 :: v_dual_mov_b32 v16, 0
	;; [unrolled: 1-line block ×9, first 2 shown]
	v_mov_b32_e32 v1, 0
	s_waitcnt lgkmcnt(0)
	s_add_u32 s0, s0, s8
	s_mov_b32 s2, s15
	s_addc_u32 s1, s1, s9
	s_mov_b64 s[8:9], 0
.LBB21_1:                               ; =>This Inner Loop Header: Depth=1
	s_delay_alu instid0(SALU_CYCLE_1)
	s_cmp_eq_u32 s8, 1
	s_cselect_b32 vcc_lo, -1, 0
	s_cmp_eq_u32 s8, 2
	v_cndmask_b32_e32 v29, v23, v24, vcc_lo
	s_cselect_b32 vcc_lo, -1, 0
	s_cmp_eq_u32 s8, 3
	s_delay_alu instid0(VALU_DEP_1) | instskip(SKIP_2) | instid1(VALU_DEP_1)
	v_cndmask_b32_e32 v29, v29, v25, vcc_lo
	s_cselect_b32 vcc_lo, -1, 0
	s_cmp_eq_u32 s8, 4
	v_cndmask_b32_e32 v29, v29, v26, vcc_lo
	s_cselect_b32 vcc_lo, -1, 0
	s_cmp_eq_u32 s8, 5
	s_delay_alu instid0(VALU_DEP_1)
	v_cndmask_b32_e32 v29, v29, v27, vcc_lo
	s_cselect_b32 vcc_lo, -1, 0
	s_add_u32 s8, s8, 1
	s_addc_u32 s9, s9, 0
	s_cmp_eq_u32 s8, 6
	v_cndmask_b32_e32 v29, v29, v28, vcc_lo
	s_delay_alu instid0(VALU_DEP_1) | instskip(NEXT) | instid1(VALU_DEP_1)
	v_lshlrev_b32_e32 v33, 2, v29
	v_add_co_u32 v39, s3, s6, v33
	s_delay_alu instid0(VALU_DEP_1)
	v_add_co_ci_u32_e64 v40, null, s7, 0, s3
	s_clause 0x1
	global_load_b128 v[29:32], v33, s[0:1]
	global_load_b128 v[33:36], v33, s[6:7]
	v_add_co_u32 v37, vcc_lo, 0x3000, v39
	v_add_co_ci_u32_e32 v38, vcc_lo, 0, v40, vcc_lo
	v_add_co_u32 v41, vcc_lo, 0x6000, v39
	v_add_co_ci_u32_e32 v42, vcc_lo, 0, v40, vcc_lo
	v_add_co_u32 v45, vcc_lo, 0x9000, v39
	v_add_co_ci_u32_e32 v46, vcc_lo, 0, v40, vcc_lo
	v_add_co_u32 v49, vcc_lo, 0xc000, v39
	v_add_co_ci_u32_e32 v50, vcc_lo, 0, v40, vcc_lo
	v_add_co_u32 v53, vcc_lo, 0xf000, v39
	v_add_co_ci_u32_e32 v54, vcc_lo, 0, v40, vcc_lo
	v_add_co_u32 v57, vcc_lo, 0x12000, v39
	v_add_co_ci_u32_e32 v58, vcc_lo, 0, v40, vcc_lo
	v_add_co_u32 v61, vcc_lo, 0x15000, v39
	v_add_co_ci_u32_e32 v62, vcc_lo, 0, v40, vcc_lo
	v_add_co_u32 v65, vcc_lo, 0x18000, v39
	v_add_co_ci_u32_e32 v66, vcc_lo, 0, v40, vcc_lo
	v_add_co_u32 v67, vcc_lo, 0x1b000, v39
	v_add_co_ci_u32_e32 v68, vcc_lo, 0, v40, vcc_lo
	v_add_co_u32 v69, vcc_lo, 0x1e000, v39
	v_add_co_ci_u32_e32 v70, vcc_lo, 0, v40, vcc_lo
	v_add_co_u32 v71, vcc_lo, 0x21000, v39
	v_add_co_ci_u32_e32 v72, vcc_lo, 0, v40, vcc_lo
	v_add_co_u32 v73, vcc_lo, 0x24000, v39
	v_add_co_ci_u32_e32 v74, vcc_lo, 0, v40, vcc_lo
	v_add_co_u32 v75, vcc_lo, 0x27000, v39
	v_add_co_ci_u32_e32 v76, vcc_lo, 0, v40, vcc_lo
	v_add_co_u32 v77, vcc_lo, 0x2a000, v39
	v_add_co_ci_u32_e32 v78, vcc_lo, 0, v40, vcc_lo
	v_add_co_u32 v79, vcc_lo, 0x2d000, v39
	v_add_co_ci_u32_e32 v80, vcc_lo, 0, v40, vcc_lo
	v_add_co_u32 v81, vcc_lo, 0x30000, v39
	v_add_co_ci_u32_e32 v82, vcc_lo, 0, v40, vcc_lo
	v_add_co_u32 v83, vcc_lo, 0x33000, v39
	v_add_co_ci_u32_e32 v84, vcc_lo, 0, v40, vcc_lo
	v_add_co_u32 v85, vcc_lo, 0x36000, v39
	v_add_co_ci_u32_e32 v86, vcc_lo, 0, v40, vcc_lo
	v_add_co_u32 v87, vcc_lo, 0x39000, v39
	v_add_co_ci_u32_e32 v88, vcc_lo, 0, v40, vcc_lo
	v_add_co_u32 v89, vcc_lo, 0x3c000, v39
	v_add_co_ci_u32_e32 v90, vcc_lo, 0, v40, vcc_lo
	v_add_co_u32 v91, vcc_lo, 0x3f000, v39
	v_add_co_ci_u32_e32 v92, vcc_lo, 0, v40, vcc_lo
	s_clause 0x6
	global_load_b128 v[37:40], v[37:38], off
	global_load_b128 v[41:44], v[41:42], off
	;; [unrolled: 1-line block ×7, first 2 shown]
	s_waitcnt vmcnt(5)
	v_fmac_f32_e32 v20, v41, v29
	s_waitcnt vmcnt(2)
	v_fmac_f32_e32 v17, v53, v29
	v_fmac_f32_e32 v18, v49, v29
	s_delay_alu instid0(VALU_DEP_3) | instskip(SKIP_1) | instid1(VALU_DEP_3)
	v_fmac_f32_e32 v20, v42, v30
	s_waitcnt vmcnt(1)
	v_dual_fmac_f32 v16, v57, v29 :: v_dual_fmac_f32 v17, v54, v30
	s_delay_alu instid0(VALU_DEP_3) | instskip(SKIP_2) | instid1(VALU_DEP_4)
	v_dual_fmac_f32 v21, v37, v29 :: v_dual_fmac_f32 v18, v50, v30
	v_fmac_f32_e32 v22, v33, v29
	v_fmac_f32_e32 v20, v43, v31
	;; [unrolled: 1-line block ×3, first 2 shown]
	s_delay_alu instid0(VALU_DEP_4) | instskip(NEXT) | instid1(VALU_DEP_4)
	v_dual_fmac_f32 v21, v38, v30 :: v_dual_fmac_f32 v18, v51, v31
	v_dual_fmac_f32 v22, v34, v30 :: v_dual_fmac_f32 v19, v45, v29
	s_delay_alu instid0(VALU_DEP_2) | instskip(NEXT) | instid1(VALU_DEP_3)
	v_dual_fmac_f32 v20, v44, v32 :: v_dual_fmac_f32 v21, v39, v31
	v_fmac_f32_e32 v18, v52, v32
	s_delay_alu instid0(VALU_DEP_3) | instskip(NEXT) | instid1(VALU_DEP_3)
	v_dual_fmac_f32 v22, v35, v31 :: v_dual_fmac_f32 v19, v46, v30
	v_dual_fmac_f32 v16, v59, v31 :: v_dual_fmac_f32 v21, v40, v32
	s_delay_alu instid0(VALU_DEP_2)
	v_fmac_f32_e32 v22, v36, v32
	s_clause 0x3
	global_load_b128 v[33:36], v[65:66], off
	global_load_b128 v[65:68], v[67:68], off
	;; [unrolled: 1-line block ×4, first 2 shown]
	v_fmac_f32_e32 v19, v47, v31
	s_clause 0x1
	global_load_b128 v[41:44], v[73:74], off
	global_load_b128 v[73:76], v[75:76], off
	v_dual_fmac_f32 v17, v55, v31 :: v_dual_fmac_f32 v16, v60, v32
	v_fmac_f32_e32 v19, v48, v32
	s_clause 0x3
	global_load_b128 v[45:48], v[77:78], off
	global_load_b128 v[77:80], v[79:80], off
	;; [unrolled: 1-line block ×4, first 2 shown]
	s_waitcnt vmcnt(9)
	v_dual_fmac_f32 v14, v33, v29 :: v_dual_fmac_f32 v17, v56, v32
	s_waitcnt vmcnt(7)
	v_fmac_f32_e32 v12, v37, v29
	s_clause 0x3
	global_load_b128 v[53:56], v[85:86], off
	global_load_b128 v[85:88], v[87:88], off
	;; [unrolled: 1-line block ×4, first 2 shown]
	v_dual_fmac_f32 v15, v61, v29 :: v_dual_fmac_f32 v14, v34, v30
	v_dual_fmac_f32 v13, v65, v29 :: v_dual_fmac_f32 v12, v38, v30
	s_waitcnt vmcnt(9)
	s_delay_alu instid0(VALU_DEP_2) | instskip(SKIP_3) | instid1(VALU_DEP_3)
	v_dual_fmac_f32 v10, v41, v29 :: v_dual_fmac_f32 v15, v62, v30
	v_fmac_f32_e32 v11, v69, v29
	s_waitcnt vmcnt(7)
	v_dual_fmac_f32 v8, v45, v29 :: v_dual_fmac_f32 v13, v66, v30
	v_dual_fmac_f32 v9, v73, v29 :: v_dual_fmac_f32 v10, v42, v30
	s_waitcnt vmcnt(5)
	v_dual_fmac_f32 v6, v49, v29 :: v_dual_fmac_f32 v11, v70, v30
	s_delay_alu instid0(VALU_DEP_3) | instskip(NEXT) | instid1(VALU_DEP_3)
	v_dual_fmac_f32 v7, v77, v29 :: v_dual_fmac_f32 v8, v46, v30
	v_fmac_f32_e32 v9, v74, v30
	s_delay_alu instid0(VALU_DEP_3) | instskip(NEXT) | instid1(VALU_DEP_3)
	v_fmac_f32_e32 v6, v50, v30
	v_dual_fmac_f32 v14, v35, v31 :: v_dual_fmac_f32 v7, v78, v30
	v_fmac_f32_e32 v15, v63, v31
	v_fmac_f32_e32 v12, v39, v31
	;; [unrolled: 1-line block ×6, first 2 shown]
	v_dual_fmac_f32 v9, v75, v31 :: v_dual_fmac_f32 v14, v36, v32
	v_dual_fmac_f32 v6, v51, v31 :: v_dual_fmac_f32 v15, v64, v32
	;; [unrolled: 1-line block ×3, first 2 shown]
	v_fmac_f32_e32 v13, v68, v32
	s_delay_alu instid0(VALU_DEP_3)
	v_fmac_f32_e32 v6, v52, v32
	v_fmac_f32_e32 v10, v44, v32
	;; [unrolled: 1-line block ×5, first 2 shown]
	s_waitcnt vmcnt(3)
	v_dual_fmac_f32 v7, v80, v32 :: v_dual_fmac_f32 v4, v53, v29
	v_fmac_f32_e32 v5, v81, v29
	s_waitcnt vmcnt(1)
	v_fmac_f32_e32 v2, v57, v29
	v_fmac_f32_e32 v3, v85, v29
	s_waitcnt vmcnt(0)
	v_dual_fmac_f32 v1, v89, v29 :: v_dual_fmac_f32 v4, v54, v30
	v_fmac_f32_e32 v5, v82, v30
	v_fmac_f32_e32 v2, v58, v30
	;; [unrolled: 1-line block ×3, first 2 shown]
	s_delay_alu instid0(VALU_DEP_4) | instskip(NEXT) | instid1(VALU_DEP_4)
	v_dual_fmac_f32 v1, v90, v30 :: v_dual_fmac_f32 v4, v55, v31
	v_fmac_f32_e32 v5, v83, v31
	s_delay_alu instid0(VALU_DEP_4) | instskip(NEXT) | instid1(VALU_DEP_4)
	v_fmac_f32_e32 v2, v59, v31
	v_fmac_f32_e32 v3, v87, v31
	s_delay_alu instid0(VALU_DEP_4) | instskip(NEXT) | instid1(VALU_DEP_4)
	v_dual_fmac_f32 v1, v91, v31 :: v_dual_fmac_f32 v4, v56, v32
	v_fmac_f32_e32 v5, v84, v32
	s_delay_alu instid0(VALU_DEP_4) | instskip(NEXT) | instid1(VALU_DEP_4)
	v_fmac_f32_e32 v2, v60, v32
	v_fmac_f32_e32 v3, v88, v32
	s_delay_alu instid0(VALU_DEP_4)
	v_fmac_f32_e32 v1, v92, v32
	s_cbranch_scc0 .LBB21_1
; %bb.2:
	v_mbcnt_lo_u32_b32 v26, -1, 0
	v_lshrrev_b32_e32 v30, 5, v0
	s_delay_alu instid0(VALU_DEP_2) | instskip(SKIP_1) | instid1(VALU_DEP_2)
	v_xor_b32_e32 v23, 16, v26
	v_xor_b32_e32 v24, 8, v26
	v_cmp_gt_i32_e32 vcc_lo, 32, v23
	v_cndmask_b32_e32 v23, v26, v23, vcc_lo
	s_delay_alu instid0(VALU_DEP_3) | instskip(SKIP_1) | instid1(VALU_DEP_1)
	v_cmp_gt_i32_e32 vcc_lo, 32, v24
	v_cndmask_b32_e32 v24, v26, v24, vcc_lo
	v_lshlrev_b32_e32 v24, 2, v24
	s_delay_alu instid0(VALU_DEP_4) | instskip(SKIP_4) | instid1(VALU_DEP_1)
	v_lshlrev_b32_e32 v23, 2, v23
	ds_bpermute_b32 v25, v23, v22
	s_waitcnt lgkmcnt(0)
	v_add_f32_e32 v25, v22, v25
	v_xor_b32_e32 v22, 4, v26
	v_cmp_gt_i32_e32 vcc_lo, 32, v22
	v_cndmask_b32_e32 v22, v26, v22, vcc_lo
	s_delay_alu instid0(VALU_DEP_1)
	v_lshlrev_b32_e32 v22, 2, v22
	ds_bpermute_b32 v27, v24, v25
	s_waitcnt lgkmcnt(0)
	v_add_f32_e32 v27, v25, v27
	v_xor_b32_e32 v25, 2, v26
	ds_bpermute_b32 v28, v22, v27
	v_cmp_gt_i32_e32 vcc_lo, 32, v25
	s_waitcnt lgkmcnt(0)
	v_dual_cndmask_b32 v25, v26, v25 :: v_dual_add_f32 v28, v27, v28
	v_xor_b32_e32 v27, 1, v26
	s_delay_alu instid0(VALU_DEP_1) | instskip(NEXT) | instid1(VALU_DEP_3)
	v_cmp_gt_i32_e32 vcc_lo, 32, v27
	v_dual_cndmask_b32 v26, v26, v27 :: v_dual_lshlrev_b32 v25, 2, v25
	ds_bpermute_b32 v29, v25, v28
	v_lshlrev_b32_e32 v27, 2, v26
	v_and_b32_e32 v26, 31, v0
	s_delay_alu instid0(VALU_DEP_1)
	v_cmp_eq_u32_e32 vcc_lo, 0, v26
	v_lshlrev_b32_e32 v26, 2, v30
	s_waitcnt lgkmcnt(0)
	v_add_f32_e32 v28, v28, v29
	ds_bpermute_b32 v29, v27, v28
	s_and_saveexec_b32 s0, vcc_lo
	s_cbranch_execz .LBB21_4
; %bb.3:
	s_waitcnt lgkmcnt(0)
	v_add_f32_e32 v28, v28, v29
	ds_store_b32 v26, v28
.LBB21_4:
	s_or_b32 exec_lo, exec_lo, s0
	ds_bpermute_b32 v28, v23, v21
	s_waitcnt lgkmcnt(0)
	v_add_f32_e32 v21, v21, v28
	ds_bpermute_b32 v28, v24, v21
	s_waitcnt lgkmcnt(0)
	v_add_f32_e32 v21, v21, v28
	ds_bpermute_b32 v28, v22, v21
	s_waitcnt lgkmcnt(0)
	v_add_f32_e32 v21, v21, v28
	ds_bpermute_b32 v28, v25, v21
	s_waitcnt lgkmcnt(0)
	v_add_f32_e32 v21, v21, v28
	ds_bpermute_b32 v28, v27, v21
	s_and_saveexec_b32 s0, vcc_lo
	s_cbranch_execz .LBB21_6
; %bb.5:
	s_waitcnt lgkmcnt(0)
	v_add_f32_e32 v21, v21, v28
	ds_store_b32 v26, v21 offset:16
.LBB21_6:
	s_or_b32 exec_lo, exec_lo, s0
	ds_bpermute_b32 v21, v23, v20
	s_waitcnt lgkmcnt(0)
	v_add_f32_e32 v20, v20, v21
	ds_bpermute_b32 v21, v24, v20
	s_waitcnt lgkmcnt(0)
	v_add_f32_e32 v20, v20, v21
	ds_bpermute_b32 v21, v22, v20
	s_waitcnt lgkmcnt(0)
	v_add_f32_e32 v20, v20, v21
	ds_bpermute_b32 v21, v25, v20
	s_waitcnt lgkmcnt(0)
	v_add_f32_e32 v20, v20, v21
	ds_bpermute_b32 v21, v27, v20
	s_and_saveexec_b32 s0, vcc_lo
	s_cbranch_execz .LBB21_8
; %bb.7:
	s_waitcnt lgkmcnt(0)
	v_add_f32_e32 v20, v20, v21
	ds_store_b32 v26, v20 offset:32
.LBB21_8:
	;; [unrolled: 21-line block ×21, first 2 shown]
	s_or_b32 exec_lo, exec_lo, s0
	s_waitcnt lgkmcnt(0)
	s_barrier
	buffer_gl0_inv
	s_mov_b32 s0, exec_lo
	v_cmpx_eq_u32_e32 0, v0
	s_cbranch_execz .LBB21_48
; %bb.47:
	v_mov_b32_e32 v48, 0
	s_ashr_i32 s3, s2, 31
	ds_load_b128 v[0:3], v48
	ds_load_b128 v[4:7], v48 offset:16
	ds_load_b128 v[8:11], v48 offset:32
	;; [unrolled: 1-line block ×7, first 2 shown]
	s_lshl_b64 s[0:1], s[2:3], 2
	s_delay_alu instid0(SALU_CYCLE_1)
	s_add_u32 s0, s4, s0
	s_addc_u32 s1, s5, s1
	s_waitcnt lgkmcnt(4)
	v_add_f32_e32 v12, 0, v12
	v_add_f32_e32 v0, 0, v0
	s_waitcnt lgkmcnt(2)
	v_add_f32_e32 v20, 0, v20
	v_add_f32_e32 v4, 0, v4
	;; [unrolled: 3-line block ×3, first 2 shown]
	s_delay_alu instid0(VALU_DEP_3)
	v_dual_add_f32 v1, v4, v5 :: v_dual_add_f32 v8, 0, v8
	ds_load_b128 v[32:35], v48 offset:128
	ds_load_b128 v[36:39], v48 offset:144
	ds_load_b128 v[40:43], v48 offset:160
	ds_load_b128 v[44:47], v48 offset:176
	v_add_f32_e32 v5, v12, v13
	v_add_f32_e32 v0, v0, v2
	v_dual_add_f32 v1, v1, v6 :: v_dual_add_f32 v16, 0, v16
	v_add_f32_e32 v4, v8, v9
	s_delay_alu instid0(VALU_DEP_2) | instskip(NEXT) | instid1(VALU_DEP_2)
	v_add_f32_e32 v8, v16, v17
	v_add_f32_e32 v2, v4, v10
	;; [unrolled: 1-line block ×6, first 2 shown]
	s_waitcnt lgkmcnt(3)
	v_add_f32_e32 v3, 0, v32
	s_delay_alu instid0(VALU_DEP_2) | instskip(SKIP_4) | instid1(VALU_DEP_2)
	v_add_f32_e32 v19, v5, v19
	v_add_f32_e32 v9, v20, v21
	v_dual_mov_b32 v21, 0x1000 :: v_dual_add_f32 v24, 0, v24
	v_add_f32_e32 v1, v28, v29
	s_waitcnt lgkmcnt(2)
	v_dual_add_f32 v5, 0, v36 :: v_dual_add_f32 v0, v24, v25
	s_delay_alu instid0(VALU_DEP_2) | instskip(NEXT) | instid1(VALU_DEP_2)
	v_add_f32_e32 v1, v1, v30
	v_add_f32_e32 v0, v0, v26
	s_delay_alu instid0(VALU_DEP_3) | instskip(SKIP_3) | instid1(VALU_DEP_2)
	v_dual_add_f32 v26, v5, v37 :: v_dual_mov_b32 v37, 0x2000
	v_add_f32_e32 v18, v2, v11
	v_add_f32_e32 v2, v9, v22
	;; [unrolled: 1-line block ×7, first 2 shown]
	ds_load_b128 v[0:3], v48 offset:192
	s_waitcnt lgkmcnt(2)
	v_add_f32_e32 v27, 0, v40
	v_add_f32_e32 v25, v4, v34
	ds_load_b128 v[4:7], v48 offset:208
	ds_load_b128 v[8:11], v48 offset:224
	;; [unrolled: 1-line block ×3, first 2 shown]
	s_waitcnt lgkmcnt(4)
	v_add_f32_e32 v28, 0, v44
	s_clause 0x7
	global_store_b32 v48, v16, s[0:1]
	global_store_b32 v48, v17, s[0:1] offset:1024
	global_store_b32 v48, v18, s[0:1] offset:2048
	;; [unrolled: 1-line block ×3, first 2 shown]
	global_store_b32 v21, v19, s[0:1]
	global_store_b32 v21, v22, s[0:1] offset:1024
	global_store_b32 v21, v23, s[0:1] offset:2048
	global_store_b32 v21, v24, s[0:1] offset:3072
	v_dual_add_f32 v20, v27, v41 :: v_dual_add_f32 v21, v26, v38
	ds_load_b128 v[16:19], v48 offset:256
	v_add_f32_e32 v22, v28, v45
	v_add_f32_e32 v36, v25, v35
	;; [unrolled: 1-line block ×4, first 2 shown]
	s_waitcnt lgkmcnt(4)
	s_delay_alu instid0(VALU_DEP_2)
	v_dual_add_f32 v39, v20, v43 :: v_dual_add_f32 v0, 0, v0
	s_waitcnt lgkmcnt(3)
	v_add_f32_e32 v4, 0, v4
	s_waitcnt lgkmcnt(2)
	v_add_f32_e32 v8, 0, v8
	v_dual_add_f32 v0, v0, v1 :: v_dual_add_f32 v1, v22, v46
	s_delay_alu instid0(VALU_DEP_1) | instskip(SKIP_1) | instid1(VALU_DEP_2)
	v_add_f32_e32 v0, v0, v2
	s_waitcnt lgkmcnt(1)
	v_dual_add_f32 v40, v1, v47 :: v_dual_add_f32 v1, 0, v12
	v_add_f32_e32 v2, v4, v5
	v_add_f32_e32 v4, v8, v9
	v_dual_add_f32 v5, v0, v3 :: v_dual_mov_b32 v8, 0x3000
	s_delay_alu instid0(VALU_DEP_3)
	v_dual_add_f32 v9, v1, v13 :: v_dual_add_f32 v6, v2, v6
	ds_load_b128 v[0:3], v48 offset:272
	ds_load_b128 v[20:23], v48 offset:288
	;; [unrolled: 1-line block ×5, first 2 shown]
	v_add_f32_e32 v4, v4, v10
	s_waitcnt lgkmcnt(5)
	v_dual_add_f32 v9, v9, v14 :: v_dual_add_f32 v10, 0, v16
	v_add_f32_e32 v6, v6, v7
	s_delay_alu instid0(VALU_DEP_3) | instskip(NEXT) | instid1(VALU_DEP_3)
	v_add_f32_e32 v4, v4, v11
	v_add_f32_e32 v7, v9, v15
	s_clause 0x7
	global_store_b32 v37, v36, s[0:1]
	global_store_b32 v37, v38, s[0:1] offset:1024
	global_store_b32 v37, v39, s[0:1] offset:2048
	;; [unrolled: 1-line block ×3, first 2 shown]
	global_store_b32 v8, v5, s[0:1]
	global_store_b32 v8, v6, s[0:1] offset:1024
	global_store_b32 v8, v4, s[0:1] offset:2048
	;; [unrolled: 1-line block ×3, first 2 shown]
	v_dual_add_f32 v10, v10, v17 :: v_dual_mov_b32 v5, 0x4000
	s_waitcnt lgkmcnt(3)
	s_delay_alu instid0(VALU_DEP_1)
	v_dual_add_f32 v9, v10, v18 :: v_dual_add_f32 v6, 0, v20
	v_add_f32_e32 v0, 0, v0
	s_waitcnt lgkmcnt(2)
	v_add_f32_e32 v7, 0, v24
	s_waitcnt lgkmcnt(1)
	v_add_f32_e32 v8, 0, v28
	v_add_f32_e32 v4, v9, v19
	;; [unrolled: 1-line block ×3, first 2 shown]
	s_waitcnt lgkmcnt(0)
	v_dual_add_f32 v0, v0, v1 :: v_dual_add_f32 v1, 0, v32
	v_add_f32_e32 v7, v7, v25
	v_add_f32_e32 v8, v8, v29
	s_delay_alu instid0(VALU_DEP_3) | instskip(SKIP_1) | instid1(VALU_DEP_4)
	v_dual_add_f32 v0, v0, v2 :: v_dual_add_f32 v1, v1, v33
	v_add_f32_e32 v2, v6, v22
	v_add_f32_e32 v6, v7, v26
	s_delay_alu instid0(VALU_DEP_4) | instskip(NEXT) | instid1(VALU_DEP_4)
	v_add_f32_e32 v7, v8, v30
	v_dual_add_f32 v0, v0, v3 :: v_dual_add_f32 v1, v1, v34
	s_delay_alu instid0(VALU_DEP_4) | instskip(NEXT) | instid1(VALU_DEP_4)
	v_add_f32_e32 v2, v2, v23
	v_add_f32_e32 v3, v6, v27
	s_delay_alu instid0(VALU_DEP_4) | instskip(NEXT) | instid1(VALU_DEP_4)
	v_dual_add_f32 v6, v7, v31 :: v_dual_mov_b32 v7, 0x5000
	v_add_f32_e32 v1, v1, v35
	s_clause 0x5
	global_store_b32 v5, v4, s[0:1]
	global_store_b32 v5, v0, s[0:1] offset:1024
	global_store_b32 v5, v2, s[0:1] offset:2048
	;; [unrolled: 1-line block ×3, first 2 shown]
	global_store_b32 v7, v6, s[0:1]
	global_store_b32 v7, v1, s[0:1] offset:1024
.LBB21_48:
	s_nop 0
	s_sendmsg sendmsg(MSG_DEALLOC_VGPRS)
	s_endpgm
	.section	.rodata,"a",@progbits
	.p2align	6, 0x0
	.amdhsa_kernel _Z23fp32_router_gemm_kernelIfLi128ELi22ELi256ELi3072EEvPfPKT_PKf
		.amdhsa_group_segment_fixed_size 352
		.amdhsa_private_segment_fixed_size 0
		.amdhsa_kernarg_size 24
		.amdhsa_user_sgpr_count 15
		.amdhsa_user_sgpr_dispatch_ptr 0
		.amdhsa_user_sgpr_queue_ptr 0
		.amdhsa_user_sgpr_kernarg_segment_ptr 1
		.amdhsa_user_sgpr_dispatch_id 0
		.amdhsa_user_sgpr_private_segment_size 0
		.amdhsa_wavefront_size32 1
		.amdhsa_uses_dynamic_stack 0
		.amdhsa_enable_private_segment 0
		.amdhsa_system_sgpr_workgroup_id_x 1
		.amdhsa_system_sgpr_workgroup_id_y 0
		.amdhsa_system_sgpr_workgroup_id_z 0
		.amdhsa_system_sgpr_workgroup_info 0
		.amdhsa_system_vgpr_workitem_id 0
		.amdhsa_next_free_vgpr 93
		.amdhsa_next_free_sgpr 16
		.amdhsa_reserve_vcc 1
		.amdhsa_float_round_mode_32 0
		.amdhsa_float_round_mode_16_64 0
		.amdhsa_float_denorm_mode_32 3
		.amdhsa_float_denorm_mode_16_64 3
		.amdhsa_dx10_clamp 1
		.amdhsa_ieee_mode 1
		.amdhsa_fp16_overflow 0
		.amdhsa_workgroup_processor_mode 1
		.amdhsa_memory_ordered 1
		.amdhsa_forward_progress 0
		.amdhsa_shared_vgpr_count 0
		.amdhsa_exception_fp_ieee_invalid_op 0
		.amdhsa_exception_fp_denorm_src 0
		.amdhsa_exception_fp_ieee_div_zero 0
		.amdhsa_exception_fp_ieee_overflow 0
		.amdhsa_exception_fp_ieee_underflow 0
		.amdhsa_exception_fp_ieee_inexact 0
		.amdhsa_exception_int_div_zero 0
	.end_amdhsa_kernel
	.section	.text._Z23fp32_router_gemm_kernelIfLi128ELi22ELi256ELi3072EEvPfPKT_PKf,"axG",@progbits,_Z23fp32_router_gemm_kernelIfLi128ELi22ELi256ELi3072EEvPfPKT_PKf,comdat
.Lfunc_end21:
	.size	_Z23fp32_router_gemm_kernelIfLi128ELi22ELi256ELi3072EEvPfPKT_PKf, .Lfunc_end21-_Z23fp32_router_gemm_kernelIfLi128ELi22ELi256ELi3072EEvPfPKT_PKf
                                        ; -- End function
	.section	.AMDGPU.csdata,"",@progbits
; Kernel info:
; codeLenInByte = 4576
; NumSgprs: 18
; NumVgprs: 93
; ScratchSize: 0
; MemoryBound: 0
; FloatMode: 240
; IeeeMode: 1
; LDSByteSize: 352 bytes/workgroup (compile time only)
; SGPRBlocks: 2
; VGPRBlocks: 11
; NumSGPRsForWavesPerEU: 18
; NumVGPRsForWavesPerEU: 93
; Occupancy: 16
; WaveLimiterHint : 1
; COMPUTE_PGM_RSRC2:SCRATCH_EN: 0
; COMPUTE_PGM_RSRC2:USER_SGPR: 15
; COMPUTE_PGM_RSRC2:TRAP_HANDLER: 0
; COMPUTE_PGM_RSRC2:TGID_X_EN: 1
; COMPUTE_PGM_RSRC2:TGID_Y_EN: 0
; COMPUTE_PGM_RSRC2:TGID_Z_EN: 0
; COMPUTE_PGM_RSRC2:TIDIG_COMP_CNT: 0
	.section	.text._Z23fp32_router_gemm_kernelIfLi128ELi23ELi256ELi3072EEvPfPKT_PKf,"axG",@progbits,_Z23fp32_router_gemm_kernelIfLi128ELi23ELi256ELi3072EEvPfPKT_PKf,comdat
	.protected	_Z23fp32_router_gemm_kernelIfLi128ELi23ELi256ELi3072EEvPfPKT_PKf ; -- Begin function _Z23fp32_router_gemm_kernelIfLi128ELi23ELi256ELi3072EEvPfPKT_PKf
	.globl	_Z23fp32_router_gemm_kernelIfLi128ELi23ELi256ELi3072EEvPfPKT_PKf
	.p2align	8
	.type	_Z23fp32_router_gemm_kernelIfLi128ELi23ELi256ELi3072EEvPfPKT_PKf,@function
_Z23fp32_router_gemm_kernelIfLi128ELi23ELi256ELi3072EEvPfPKT_PKf: ; @_Z23fp32_router_gemm_kernelIfLi128ELi23ELi256ELi3072EEvPfPKT_PKf
; %bb.0:
	s_clause 0x1
	s_load_b128 s[4:7], s[0:1], 0x0
	s_load_b64 s[0:1], s[0:1], 0x10
	v_dual_mov_b32 v23, 0 :: v_dual_lshlrev_b32 v24, 2, v0
	s_mul_i32 s8, s15, 0xc00
	v_dual_mov_b32 v22, 0 :: v_dual_mov_b32 v21, 0
	s_ashr_i32 s9, s8, 31
	s_delay_alu instid0(VALU_DEP_2)
	v_or_b32_e32 v25, 0x200, v24
	v_or_b32_e32 v26, 0x400, v24
	;; [unrolled: 1-line block ×5, first 2 shown]
	s_lshl_b64 s[8:9], s[8:9], 2
	v_dual_mov_b32 v20, 0 :: v_dual_mov_b32 v19, 0
	v_dual_mov_b32 v18, 0 :: v_dual_mov_b32 v17, 0
	;; [unrolled: 1-line block ×10, first 2 shown]
	s_waitcnt lgkmcnt(0)
	s_add_u32 s0, s0, s8
	s_mov_b32 s2, s15
	s_addc_u32 s1, s1, s9
	s_mov_b64 s[8:9], 0
.LBB22_1:                               ; =>This Inner Loop Header: Depth=1
	s_delay_alu instid0(SALU_CYCLE_1)
	s_cmp_eq_u32 s8, 1
	s_cselect_b32 vcc_lo, -1, 0
	s_cmp_eq_u32 s8, 2
	v_cndmask_b32_e32 v30, v24, v25, vcc_lo
	s_cselect_b32 vcc_lo, -1, 0
	s_cmp_eq_u32 s8, 3
	s_delay_alu instid0(VALU_DEP_1) | instskip(SKIP_2) | instid1(VALU_DEP_1)
	v_cndmask_b32_e32 v30, v30, v26, vcc_lo
	s_cselect_b32 vcc_lo, -1, 0
	s_cmp_eq_u32 s8, 4
	v_cndmask_b32_e32 v30, v30, v27, vcc_lo
	s_cselect_b32 vcc_lo, -1, 0
	s_cmp_eq_u32 s8, 5
	s_delay_alu instid0(VALU_DEP_1)
	v_cndmask_b32_e32 v30, v30, v28, vcc_lo
	s_cselect_b32 vcc_lo, -1, 0
	s_add_u32 s8, s8, 1
	s_addc_u32 s9, s9, 0
	s_cmp_eq_u32 s8, 6
	v_cndmask_b32_e32 v30, v30, v29, vcc_lo
	s_delay_alu instid0(VALU_DEP_1) | instskip(NEXT) | instid1(VALU_DEP_1)
	v_lshlrev_b32_e32 v34, 2, v30
	v_add_co_u32 v40, s3, s6, v34
	s_delay_alu instid0(VALU_DEP_1)
	v_add_co_ci_u32_e64 v41, null, s7, 0, s3
	s_clause 0x1
	global_load_b128 v[30:33], v34, s[0:1]
	global_load_b128 v[34:37], v34, s[6:7]
	v_add_co_u32 v38, vcc_lo, 0x3000, v40
	v_add_co_ci_u32_e32 v39, vcc_lo, 0, v41, vcc_lo
	v_add_co_u32 v42, vcc_lo, 0x6000, v40
	v_add_co_ci_u32_e32 v43, vcc_lo, 0, v41, vcc_lo
	v_add_co_u32 v46, vcc_lo, 0x9000, v40
	v_add_co_ci_u32_e32 v47, vcc_lo, 0, v41, vcc_lo
	v_add_co_u32 v50, vcc_lo, 0xc000, v40
	v_add_co_ci_u32_e32 v51, vcc_lo, 0, v41, vcc_lo
	v_add_co_u32 v54, vcc_lo, 0xf000, v40
	v_add_co_ci_u32_e32 v55, vcc_lo, 0, v41, vcc_lo
	v_add_co_u32 v58, vcc_lo, 0x12000, v40
	v_add_co_ci_u32_e32 v59, vcc_lo, 0, v41, vcc_lo
	v_add_co_u32 v60, vcc_lo, 0x15000, v40
	v_add_co_ci_u32_e32 v61, vcc_lo, 0, v41, vcc_lo
	v_add_co_u32 v62, vcc_lo, 0x18000, v40
	v_add_co_ci_u32_e32 v63, vcc_lo, 0, v41, vcc_lo
	v_add_co_u32 v64, vcc_lo, 0x1b000, v40
	v_add_co_ci_u32_e32 v65, vcc_lo, 0, v41, vcc_lo
	v_add_co_u32 v66, vcc_lo, 0x1e000, v40
	v_add_co_ci_u32_e32 v67, vcc_lo, 0, v41, vcc_lo
	v_add_co_u32 v68, vcc_lo, 0x21000, v40
	v_add_co_ci_u32_e32 v69, vcc_lo, 0, v41, vcc_lo
	v_add_co_u32 v70, vcc_lo, 0x24000, v40
	v_add_co_ci_u32_e32 v71, vcc_lo, 0, v41, vcc_lo
	v_add_co_u32 v72, vcc_lo, 0x27000, v40
	v_add_co_ci_u32_e32 v73, vcc_lo, 0, v41, vcc_lo
	v_add_co_u32 v74, vcc_lo, 0x2a000, v40
	v_add_co_ci_u32_e32 v75, vcc_lo, 0, v41, vcc_lo
	v_add_co_u32 v76, vcc_lo, 0x2d000, v40
	v_add_co_ci_u32_e32 v77, vcc_lo, 0, v41, vcc_lo
	v_add_co_u32 v78, vcc_lo, 0x30000, v40
	v_add_co_ci_u32_e32 v79, vcc_lo, 0, v41, vcc_lo
	v_add_co_u32 v80, vcc_lo, 0x33000, v40
	v_add_co_ci_u32_e32 v81, vcc_lo, 0, v41, vcc_lo
	v_add_co_u32 v82, vcc_lo, 0x36000, v40
	v_add_co_ci_u32_e32 v83, vcc_lo, 0, v41, vcc_lo
	v_add_co_u32 v84, vcc_lo, 0x39000, v40
	v_add_co_ci_u32_e32 v85, vcc_lo, 0, v41, vcc_lo
	v_add_co_u32 v86, vcc_lo, 0x3c000, v40
	v_add_co_ci_u32_e32 v87, vcc_lo, 0, v41, vcc_lo
	v_add_co_u32 v88, vcc_lo, 0x3f000, v40
	v_add_co_ci_u32_e32 v89, vcc_lo, 0, v41, vcc_lo
	v_add_co_u32 v90, vcc_lo, 0x42000, v40
	v_add_co_ci_u32_e32 v91, vcc_lo, 0, v41, vcc_lo
	s_clause 0x4
	global_load_b128 v[38:41], v[38:39], off
	global_load_b128 v[42:45], v[42:43], off
	;; [unrolled: 1-line block ×5, first 2 shown]
	s_waitcnt vmcnt(3)
	v_fmac_f32_e32 v21, v42, v30
	s_waitcnt vmcnt(0)
	v_fmac_f32_e32 v18, v54, v30
	v_fmac_f32_e32 v19, v50, v30
	s_delay_alu instid0(VALU_DEP_3) | instskip(NEXT) | instid1(VALU_DEP_3)
	v_fmac_f32_e32 v21, v43, v31
	v_fmac_f32_e32 v18, v55, v31
	s_delay_alu instid0(VALU_DEP_3) | instskip(SKIP_1) | instid1(VALU_DEP_2)
	v_dual_fmac_f32 v22, v38, v30 :: v_dual_fmac_f32 v19, v51, v31
	v_fmac_f32_e32 v23, v34, v30
	v_dual_fmac_f32 v21, v44, v32 :: v_dual_fmac_f32 v22, v39, v31
	s_delay_alu instid0(VALU_DEP_3) | instskip(NEXT) | instid1(VALU_DEP_3)
	v_fmac_f32_e32 v19, v52, v32
	v_fmac_f32_e32 v23, v35, v31
	s_delay_alu instid0(VALU_DEP_3) | instskip(NEXT) | instid1(VALU_DEP_3)
	v_dual_fmac_f32 v21, v45, v33 :: v_dual_fmac_f32 v20, v46, v30
	v_dual_fmac_f32 v22, v40, v32 :: v_dual_fmac_f32 v19, v53, v33
	s_delay_alu instid0(VALU_DEP_1) | instskip(NEXT) | instid1(VALU_DEP_1)
	v_dual_fmac_f32 v23, v36, v32 :: v_dual_fmac_f32 v22, v41, v33
	v_fmac_f32_e32 v23, v37, v33
	s_clause 0x5
	global_load_b128 v[34:37], v[58:59], off
	global_load_b128 v[58:61], v[60:61], off
	;; [unrolled: 1-line block ×6, first 2 shown]
	v_fmac_f32_e32 v20, v47, v31
	s_waitcnt vmcnt(5)
	v_dual_fmac_f32 v18, v56, v32 :: v_dual_fmac_f32 v17, v34, v30
	s_waitcnt vmcnt(3)
	s_delay_alu instid0(VALU_DEP_2) | instskip(SKIP_1) | instid1(VALU_DEP_2)
	v_dual_fmac_f32 v15, v38, v30 :: v_dual_fmac_f32 v20, v48, v32
	s_waitcnt vmcnt(1)
	v_dual_fmac_f32 v18, v57, v33 :: v_dual_fmac_f32 v13, v42, v30
	v_fmac_f32_e32 v17, v35, v31
	s_delay_alu instid0(VALU_DEP_3)
	v_dual_fmac_f32 v15, v39, v31 :: v_dual_fmac_f32 v16, v58, v30
	v_fmac_f32_e32 v20, v49, v33
	s_clause 0x1
	global_load_b128 v[46:49], v[70:71], off
	global_load_b128 v[70:73], v[72:73], off
	v_fmac_f32_e32 v17, v36, v32
	v_dual_fmac_f32 v15, v40, v32 :: v_dual_fmac_f32 v16, v59, v31
	s_clause 0x3
	global_load_b128 v[50:53], v[74:75], off
	global_load_b128 v[74:77], v[76:77], off
	;; [unrolled: 1-line block ×4, first 2 shown]
	v_fmac_f32_e32 v17, v37, v33
	v_dual_fmac_f32 v15, v41, v33 :: v_dual_fmac_f32 v16, v60, v32
	s_clause 0x1
	global_load_b128 v[34:37], v[82:83], off
	global_load_b128 v[82:85], v[84:85], off
	v_dual_fmac_f32 v14, v62, v30 :: v_dual_fmac_f32 v13, v43, v31
	v_fmac_f32_e32 v16, v61, v33
	s_clause 0x2
	global_load_b128 v[58:61], v[86:87], off
	global_load_b128 v[86:89], v[88:89], off
	;; [unrolled: 1-line block ×3, first 2 shown]
	v_dual_fmac_f32 v14, v63, v31 :: v_dual_fmac_f32 v13, v44, v32
	s_delay_alu instid0(VALU_DEP_1) | instskip(SKIP_1) | instid1(VALU_DEP_1)
	v_dual_fmac_f32 v14, v64, v32 :: v_dual_fmac_f32 v13, v45, v33
	s_waitcnt vmcnt(10)
	v_dual_fmac_f32 v14, v65, v33 :: v_dual_fmac_f32 v11, v46, v30
	v_fmac_f32_e32 v12, v66, v30
	s_waitcnt vmcnt(8)
	v_fmac_f32_e32 v9, v50, v30
	s_delay_alu instid0(VALU_DEP_3) | instskip(SKIP_2) | instid1(VALU_DEP_3)
	v_dual_fmac_f32 v10, v70, v30 :: v_dual_fmac_f32 v11, v47, v31
	s_waitcnt vmcnt(6)
	v_dual_fmac_f32 v7, v54, v30 :: v_dual_fmac_f32 v12, v67, v31
	v_dual_fmac_f32 v8, v74, v30 :: v_dual_fmac_f32 v9, v51, v31
	s_waitcnt vmcnt(4)
	v_dual_fmac_f32 v5, v34, v30 :: v_dual_fmac_f32 v10, v71, v31
	s_delay_alu instid0(VALU_DEP_3) | instskip(SKIP_2) | instid1(VALU_DEP_3)
	v_dual_fmac_f32 v6, v78, v30 :: v_dual_fmac_f32 v7, v55, v31
	s_waitcnt vmcnt(2)
	v_dual_fmac_f32 v3, v58, v30 :: v_dual_fmac_f32 v8, v75, v31
	v_dual_fmac_f32 v4, v82, v30 :: v_dual_fmac_f32 v5, v35, v31
	s_waitcnt vmcnt(0)
	v_dual_fmac_f32 v1, v38, v30 :: v_dual_fmac_f32 v6, v79, v31
	s_delay_alu instid0(VALU_DEP_3) | instskip(NEXT) | instid1(VALU_DEP_3)
	v_dual_fmac_f32 v2, v86, v30 :: v_dual_fmac_f32 v3, v59, v31
	v_fmac_f32_e32 v4, v83, v31
	s_delay_alu instid0(VALU_DEP_3) | instskip(NEXT) | instid1(VALU_DEP_3)
	v_fmac_f32_e32 v1, v39, v31
	v_dual_fmac_f32 v11, v48, v32 :: v_dual_fmac_f32 v2, v87, v31
	v_fmac_f32_e32 v12, v68, v32
	v_fmac_f32_e32 v9, v52, v32
	s_delay_alu instid0(VALU_DEP_3) | instskip(NEXT) | instid1(VALU_DEP_3)
	v_dual_fmac_f32 v10, v72, v32 :: v_dual_fmac_f32 v11, v49, v33
	v_dual_fmac_f32 v7, v56, v32 :: v_dual_fmac_f32 v12, v69, v33
	s_delay_alu instid0(VALU_DEP_3) | instskip(NEXT) | instid1(VALU_DEP_3)
	v_dual_fmac_f32 v8, v76, v32 :: v_dual_fmac_f32 v9, v53, v33
	v_dual_fmac_f32 v5, v36, v32 :: v_dual_fmac_f32 v10, v73, v33
	;; [unrolled: 3-line block ×4, first 2 shown]
	s_delay_alu instid0(VALU_DEP_3) | instskip(NEXT) | instid1(VALU_DEP_3)
	v_dual_fmac_f32 v2, v88, v32 :: v_dual_fmac_f32 v3, v61, v33
	v_fmac_f32_e32 v4, v85, v33
	s_delay_alu instid0(VALU_DEP_3) | instskip(NEXT) | instid1(VALU_DEP_3)
	v_fmac_f32_e32 v1, v41, v33
	v_fmac_f32_e32 v2, v89, v33
	s_cbranch_scc0 .LBB22_1
; %bb.2:
	v_mbcnt_lo_u32_b32 v27, -1, 0
	v_lshrrev_b32_e32 v31, 5, v0
	s_delay_alu instid0(VALU_DEP_2) | instskip(SKIP_1) | instid1(VALU_DEP_2)
	v_xor_b32_e32 v24, 16, v27
	v_xor_b32_e32 v25, 8, v27
	v_cmp_gt_i32_e32 vcc_lo, 32, v24
	v_cndmask_b32_e32 v24, v27, v24, vcc_lo
	s_delay_alu instid0(VALU_DEP_3) | instskip(SKIP_1) | instid1(VALU_DEP_1)
	v_cmp_gt_i32_e32 vcc_lo, 32, v25
	v_cndmask_b32_e32 v25, v27, v25, vcc_lo
	v_lshlrev_b32_e32 v25, 2, v25
	s_delay_alu instid0(VALU_DEP_4) | instskip(SKIP_4) | instid1(VALU_DEP_1)
	v_lshlrev_b32_e32 v24, 2, v24
	ds_bpermute_b32 v26, v24, v23
	s_waitcnt lgkmcnt(0)
	v_add_f32_e32 v26, v23, v26
	v_xor_b32_e32 v23, 4, v27
	v_cmp_gt_i32_e32 vcc_lo, 32, v23
	v_cndmask_b32_e32 v23, v27, v23, vcc_lo
	s_delay_alu instid0(VALU_DEP_1)
	v_lshlrev_b32_e32 v23, 2, v23
	ds_bpermute_b32 v28, v25, v26
	s_waitcnt lgkmcnt(0)
	v_add_f32_e32 v28, v26, v28
	v_xor_b32_e32 v26, 2, v27
	ds_bpermute_b32 v29, v23, v28
	v_cmp_gt_i32_e32 vcc_lo, 32, v26
	s_waitcnt lgkmcnt(0)
	v_dual_cndmask_b32 v26, v27, v26 :: v_dual_add_f32 v29, v28, v29
	v_xor_b32_e32 v28, 1, v27
	s_delay_alu instid0(VALU_DEP_1) | instskip(NEXT) | instid1(VALU_DEP_3)
	v_cmp_gt_i32_e32 vcc_lo, 32, v28
	v_dual_cndmask_b32 v27, v27, v28 :: v_dual_lshlrev_b32 v26, 2, v26
	ds_bpermute_b32 v30, v26, v29
	v_lshlrev_b32_e32 v28, 2, v27
	v_and_b32_e32 v27, 31, v0
	s_delay_alu instid0(VALU_DEP_1)
	v_cmp_eq_u32_e32 vcc_lo, 0, v27
	v_lshlrev_b32_e32 v27, 2, v31
	s_waitcnt lgkmcnt(0)
	v_add_f32_e32 v29, v29, v30
	ds_bpermute_b32 v30, v28, v29
	s_and_saveexec_b32 s0, vcc_lo
	s_cbranch_execz .LBB22_4
; %bb.3:
	s_waitcnt lgkmcnt(0)
	v_add_f32_e32 v29, v29, v30
	ds_store_b32 v27, v29
.LBB22_4:
	s_or_b32 exec_lo, exec_lo, s0
	ds_bpermute_b32 v29, v24, v22
	s_waitcnt lgkmcnt(0)
	v_add_f32_e32 v22, v22, v29
	ds_bpermute_b32 v29, v25, v22
	s_waitcnt lgkmcnt(0)
	v_add_f32_e32 v22, v22, v29
	ds_bpermute_b32 v29, v23, v22
	s_waitcnt lgkmcnt(0)
	v_add_f32_e32 v22, v22, v29
	ds_bpermute_b32 v29, v26, v22
	s_waitcnt lgkmcnt(0)
	v_add_f32_e32 v22, v22, v29
	ds_bpermute_b32 v29, v28, v22
	s_and_saveexec_b32 s0, vcc_lo
	s_cbranch_execz .LBB22_6
; %bb.5:
	s_waitcnt lgkmcnt(0)
	v_add_f32_e32 v22, v22, v29
	ds_store_b32 v27, v22 offset:16
.LBB22_6:
	s_or_b32 exec_lo, exec_lo, s0
	ds_bpermute_b32 v22, v24, v21
	s_waitcnt lgkmcnt(0)
	v_add_f32_e32 v21, v21, v22
	ds_bpermute_b32 v22, v25, v21
	s_waitcnt lgkmcnt(0)
	v_add_f32_e32 v21, v21, v22
	ds_bpermute_b32 v22, v23, v21
	s_waitcnt lgkmcnt(0)
	v_add_f32_e32 v21, v21, v22
	ds_bpermute_b32 v22, v26, v21
	s_waitcnt lgkmcnt(0)
	v_add_f32_e32 v21, v21, v22
	ds_bpermute_b32 v22, v28, v21
	s_and_saveexec_b32 s0, vcc_lo
	s_cbranch_execz .LBB22_8
; %bb.7:
	s_waitcnt lgkmcnt(0)
	v_add_f32_e32 v21, v21, v22
	ds_store_b32 v27, v21 offset:32
.LBB22_8:
	;; [unrolled: 21-line block ×22, first 2 shown]
	s_or_b32 exec_lo, exec_lo, s0
	s_waitcnt lgkmcnt(0)
	s_barrier
	buffer_gl0_inv
	s_mov_b32 s0, exec_lo
	v_cmpx_eq_u32_e32 0, v0
	s_cbranch_execz .LBB22_50
; %bb.49:
	v_mov_b32_e32 v40, 0
	s_ashr_i32 s3, s2, 31
	ds_load_b128 v[0:3], v40
	ds_load_b128 v[4:7], v40 offset:16
	ds_load_b128 v[8:11], v40 offset:32
	;; [unrolled: 1-line block ×7, first 2 shown]
	s_lshl_b64 s[0:1], s[2:3], 2
	s_delay_alu instid0(SALU_CYCLE_1)
	s_add_u32 s0, s4, s0
	s_addc_u32 s1, s5, s1
	s_waitcnt lgkmcnt(4)
	v_add_f32_e32 v12, 0, v12
	v_add_f32_e32 v0, 0, v0
	s_waitcnt lgkmcnt(2)
	v_add_f32_e32 v20, 0, v20
	v_add_f32_e32 v4, 0, v4
	s_delay_alu instid0(VALU_DEP_3) | instskip(NEXT) | instid1(VALU_DEP_2)
	v_add_f32_e32 v0, v0, v1
	v_add_f32_e32 v1, v4, v5
	ds_load_b128 v[32:35], v40 offset:128
	ds_load_b128 v[36:39], v40 offset:144
	v_dual_add_f32 v8, 0, v8 :: v_dual_add_f32 v5, v12, v13
	v_dual_add_f32 v1, v1, v6 :: v_dual_add_f32 v16, 0, v16
	s_delay_alu instid0(VALU_DEP_2) | instskip(SKIP_1) | instid1(VALU_DEP_3)
	v_add_f32_e32 v4, v8, v9
	v_add_f32_e32 v9, v20, v21
	v_dual_add_f32 v21, v1, v7 :: v_dual_add_f32 v8, v16, v17
	s_delay_alu instid0(VALU_DEP_2) | instskip(SKIP_1) | instid1(VALU_DEP_1)
	v_add_f32_e32 v6, v9, v22
	s_waitcnt lgkmcnt(3)
	v_dual_add_f32 v24, 0, v24 :: v_dual_add_f32 v23, v6, v23
	s_waitcnt lgkmcnt(1)
	s_delay_alu instid0(VALU_DEP_1) | instskip(SKIP_1) | instid1(VALU_DEP_2)
	v_dual_add_f32 v12, v24, v25 :: v_dual_add_f32 v1, 0, v32
	v_add_f32_e32 v28, 0, v28
	v_dual_add_f32 v0, v0, v2 :: v_dual_add_f32 v9, v1, v33
	s_delay_alu instid0(VALU_DEP_1) | instskip(NEXT) | instid1(VALU_DEP_3)
	v_dual_mov_b32 v33, 0x2000 :: v_dual_add_f32 v20, v0, v3
	v_add_f32_e32 v0, v28, v29
	s_delay_alu instid0(VALU_DEP_3)
	v_dual_mov_b32 v28, 0x1000 :: v_dual_add_f32 v29, v9, v34
	v_add_f32_e32 v2, v4, v10
	v_add_f32_e32 v4, v5, v14
	;; [unrolled: 1-line block ×8, first 2 shown]
	ds_load_b128 v[0:3], v40 offset:160
	s_waitcnt lgkmcnt(1)
	v_dual_add_f32 v25, v5, v19 :: v_dual_add_f32 v12, 0, v36
	v_add_f32_e32 v26, v4, v27
	ds_load_b128 v[4:7], v40 offset:176
	v_add_f32_e32 v27, v8, v31
	ds_load_b128 v[8:11], v40 offset:192
	;; [unrolled: 2-line block ×3, first 2 shown]
	ds_load_b128 v[16:19], v40 offset:224
	s_waitcnt lgkmcnt(4)
	v_dual_mov_b32 v37, 0x3000 :: v_dual_add_f32 v0, 0, v0
	s_waitcnt lgkmcnt(3)
	v_add_f32_e32 v4, 0, v4
	s_waitcnt lgkmcnt(2)
	s_delay_alu instid0(VALU_DEP_2) | instskip(SKIP_1) | instid1(VALU_DEP_2)
	v_dual_add_f32 v0, v0, v1 :: v_dual_add_f32 v1, 0, v8
	s_waitcnt lgkmcnt(1)
	v_dual_add_f32 v4, v4, v5 :: v_dual_add_f32 v5, 0, v12
	s_delay_alu instid0(VALU_DEP_2) | instskip(SKIP_2) | instid1(VALU_DEP_3)
	v_dual_add_f32 v0, v0, v2 :: v_dual_add_f32 v1, v1, v9
	s_waitcnt lgkmcnt(0)
	v_add_f32_e32 v2, 0, v16
	v_dual_add_f32 v4, v4, v6 :: v_dual_add_f32 v5, v5, v13
	s_delay_alu instid0(VALU_DEP_3) | instskip(NEXT) | instid1(VALU_DEP_3)
	v_dual_add_f32 v35, v0, v3 :: v_dual_add_f32 v0, v1, v10
	v_add_f32_e32 v1, v2, v17
	s_clause 0x7
	global_store_b32 v40, v20, s[0:1]
	global_store_b32 v40, v21, s[0:1] offset:1024
	global_store_b32 v40, v22, s[0:1] offset:2048
	;; [unrolled: 1-line block ×3, first 2 shown]
	global_store_b32 v28, v25, s[0:1]
	global_store_b32 v28, v23, s[0:1] offset:1024
	global_store_b32 v28, v26, s[0:1] offset:2048
	;; [unrolled: 1-line block ×3, first 2 shown]
	v_add_f32_e32 v24, v30, v38
	ds_load_b128 v[20:23], v40 offset:240
	ds_load_b128 v[28:31], v40 offset:272
	v_add_f32_e32 v36, v4, v7
	v_add_f32_e32 v2, v5, v14
	;; [unrolled: 1-line block ×3, first 2 shown]
	ds_load_b128 v[24:27], v40 offset:256
	s_waitcnt lgkmcnt(2)
	v_dual_add_f32 v38, v2, v15 :: v_dual_add_f32 v3, 0, v20
	v_add_f32_e32 v20, v0, v11
	v_add_f32_e32 v0, v1, v18
	s_waitcnt lgkmcnt(0)
	s_delay_alu instid0(VALU_DEP_3) | instskip(NEXT) | instid1(VALU_DEP_2)
	v_dual_add_f32 v4, v3, v21 :: v_dual_add_f32 v5, 0, v24
	v_add_f32_e32 v21, v0, v19
	ds_load_b128 v[0:3], v40 offset:288
	v_add_f32_e32 v12, 0, v28
	v_add_f32_e32 v22, v4, v22
	;; [unrolled: 1-line block ×3, first 2 shown]
	ds_load_b128 v[4:7], v40 offset:304
	ds_load_b128 v[8:11], v40 offset:320
	v_add_f32_e32 v25, v12, v29
	ds_load_b128 v[12:15], v40 offset:336
	ds_load_b128 v[16:19], v40 offset:352
	v_dual_add_f32 v22, v22, v23 :: v_dual_add_f32 v23, v24, v26
	v_add_f32_e32 v24, v25, v30
	s_waitcnt lgkmcnt(4)
	v_add_f32_e32 v0, 0, v0
	s_waitcnt lgkmcnt(3)
	;; [unrolled: 2-line block ×4, first 2 shown]
	v_dual_add_f32 v0, v0, v1 :: v_dual_add_f32 v1, 0, v12
	s_waitcnt lgkmcnt(0)
	v_add_f32_e32 v12, 0, v16
	v_add_f32_e32 v4, v4, v5
	;; [unrolled: 1-line block ×3, first 2 shown]
	v_dual_add_f32 v0, v0, v2 :: v_dual_add_f32 v1, v1, v13
	s_delay_alu instid0(VALU_DEP_4) | instskip(NEXT) | instid1(VALU_DEP_4)
	v_add_f32_e32 v2, v12, v17
	v_add_f32_e32 v4, v4, v6
	s_delay_alu instid0(VALU_DEP_3) | instskip(NEXT) | instid1(VALU_DEP_4)
	v_dual_add_f32 v5, v5, v10 :: v_dual_add_f32 v0, v0, v3
	v_add_f32_e32 v1, v1, v14
	s_delay_alu instid0(VALU_DEP_3) | instskip(NEXT) | instid1(VALU_DEP_3)
	v_dual_add_f32 v2, v2, v18 :: v_dual_add_f32 v3, v4, v7
	v_dual_add_f32 v4, v5, v11 :: v_dual_mov_b32 v5, 0x5000
	s_clause 0x7
	global_store_b32 v33, v32, s[0:1]
	global_store_b32 v33, v34, s[0:1] offset:1024
	global_store_b32 v33, v35, s[0:1] offset:2048
	;; [unrolled: 1-line block ×3, first 2 shown]
	global_store_b32 v37, v20, s[0:1]
	global_store_b32 v37, v38, s[0:1] offset:1024
	global_store_b32 v37, v21, s[0:1] offset:2048
	;; [unrolled: 1-line block ×3, first 2 shown]
	v_dual_add_f32 v20, v23, v27 :: v_dual_mov_b32 v21, 0x4000
	v_add_f32_e32 v22, v24, v31
	v_add_f32_e32 v1, v1, v15
	;; [unrolled: 1-line block ×3, first 2 shown]
	s_clause 0x6
	global_store_b32 v21, v20, s[0:1]
	global_store_b32 v21, v22, s[0:1] offset:1024
	global_store_b32 v21, v0, s[0:1] offset:2048
	;; [unrolled: 1-line block ×3, first 2 shown]
	global_store_b32 v5, v4, s[0:1]
	global_store_b32 v5, v1, s[0:1] offset:1024
	global_store_b32 v5, v2, s[0:1] offset:2048
.LBB22_50:
	s_nop 0
	s_sendmsg sendmsg(MSG_DEALLOC_VGPRS)
	s_endpgm
	.section	.rodata,"a",@progbits
	.p2align	6, 0x0
	.amdhsa_kernel _Z23fp32_router_gemm_kernelIfLi128ELi23ELi256ELi3072EEvPfPKT_PKf
		.amdhsa_group_segment_fixed_size 368
		.amdhsa_private_segment_fixed_size 0
		.amdhsa_kernarg_size 24
		.amdhsa_user_sgpr_count 15
		.amdhsa_user_sgpr_dispatch_ptr 0
		.amdhsa_user_sgpr_queue_ptr 0
		.amdhsa_user_sgpr_kernarg_segment_ptr 1
		.amdhsa_user_sgpr_dispatch_id 0
		.amdhsa_user_sgpr_private_segment_size 0
		.amdhsa_wavefront_size32 1
		.amdhsa_uses_dynamic_stack 0
		.amdhsa_enable_private_segment 0
		.amdhsa_system_sgpr_workgroup_id_x 1
		.amdhsa_system_sgpr_workgroup_id_y 0
		.amdhsa_system_sgpr_workgroup_id_z 0
		.amdhsa_system_sgpr_workgroup_info 0
		.amdhsa_system_vgpr_workitem_id 0
		.amdhsa_next_free_vgpr 92
		.amdhsa_next_free_sgpr 16
		.amdhsa_reserve_vcc 1
		.amdhsa_float_round_mode_32 0
		.amdhsa_float_round_mode_16_64 0
		.amdhsa_float_denorm_mode_32 3
		.amdhsa_float_denorm_mode_16_64 3
		.amdhsa_dx10_clamp 1
		.amdhsa_ieee_mode 1
		.amdhsa_fp16_overflow 0
		.amdhsa_workgroup_processor_mode 1
		.amdhsa_memory_ordered 1
		.amdhsa_forward_progress 0
		.amdhsa_shared_vgpr_count 0
		.amdhsa_exception_fp_ieee_invalid_op 0
		.amdhsa_exception_fp_denorm_src 0
		.amdhsa_exception_fp_ieee_div_zero 0
		.amdhsa_exception_fp_ieee_overflow 0
		.amdhsa_exception_fp_ieee_underflow 0
		.amdhsa_exception_fp_ieee_inexact 0
		.amdhsa_exception_int_div_zero 0
	.end_amdhsa_kernel
	.section	.text._Z23fp32_router_gemm_kernelIfLi128ELi23ELi256ELi3072EEvPfPKT_PKf,"axG",@progbits,_Z23fp32_router_gemm_kernelIfLi128ELi23ELi256ELi3072EEvPfPKT_PKf,comdat
.Lfunc_end22:
	.size	_Z23fp32_router_gemm_kernelIfLi128ELi23ELi256ELi3072EEvPfPKT_PKf, .Lfunc_end22-_Z23fp32_router_gemm_kernelIfLi128ELi23ELi256ELi3072EEvPfPKT_PKf
                                        ; -- End function
	.section	.AMDGPU.csdata,"",@progbits
; Kernel info:
; codeLenInByte = 4768
; NumSgprs: 18
; NumVgprs: 92
; ScratchSize: 0
; MemoryBound: 0
; FloatMode: 240
; IeeeMode: 1
; LDSByteSize: 368 bytes/workgroup (compile time only)
; SGPRBlocks: 2
; VGPRBlocks: 11
; NumSGPRsForWavesPerEU: 18
; NumVGPRsForWavesPerEU: 92
; Occupancy: 16
; WaveLimiterHint : 1
; COMPUTE_PGM_RSRC2:SCRATCH_EN: 0
; COMPUTE_PGM_RSRC2:USER_SGPR: 15
; COMPUTE_PGM_RSRC2:TRAP_HANDLER: 0
; COMPUTE_PGM_RSRC2:TGID_X_EN: 1
; COMPUTE_PGM_RSRC2:TGID_Y_EN: 0
; COMPUTE_PGM_RSRC2:TGID_Z_EN: 0
; COMPUTE_PGM_RSRC2:TIDIG_COMP_CNT: 0
	.section	.text._Z23fp32_router_gemm_kernelIfLi128ELi24ELi256ELi3072EEvPfPKT_PKf,"axG",@progbits,_Z23fp32_router_gemm_kernelIfLi128ELi24ELi256ELi3072EEvPfPKT_PKf,comdat
	.protected	_Z23fp32_router_gemm_kernelIfLi128ELi24ELi256ELi3072EEvPfPKT_PKf ; -- Begin function _Z23fp32_router_gemm_kernelIfLi128ELi24ELi256ELi3072EEvPfPKT_PKf
	.globl	_Z23fp32_router_gemm_kernelIfLi128ELi24ELi256ELi3072EEvPfPKT_PKf
	.p2align	8
	.type	_Z23fp32_router_gemm_kernelIfLi128ELi24ELi256ELi3072EEvPfPKT_PKf,@function
_Z23fp32_router_gemm_kernelIfLi128ELi24ELi256ELi3072EEvPfPKT_PKf: ; @_Z23fp32_router_gemm_kernelIfLi128ELi24ELi256ELi3072EEvPfPKT_PKf
; %bb.0:
	s_clause 0x1
	s_load_b128 s[4:7], s[0:1], 0x0
	s_load_b64 s[0:1], s[0:1], 0x10
	v_dual_mov_b32 v24, 0 :: v_dual_lshlrev_b32 v25, 2, v0
	s_mul_i32 s8, s15, 0xc00
	v_dual_mov_b32 v23, 0 :: v_dual_mov_b32 v22, 0
	s_ashr_i32 s9, s8, 31
	s_delay_alu instid0(VALU_DEP_2)
	v_or_b32_e32 v26, 0x200, v25
	v_or_b32_e32 v27, 0x400, v25
	v_or_b32_e32 v28, 0x600, v25
	v_or_b32_e32 v29, 0x800, v25
	v_or_b32_e32 v30, 0xa00, v25
	s_lshl_b64 s[8:9], s[8:9], 2
	v_dual_mov_b32 v21, 0 :: v_dual_mov_b32 v20, 0
	v_dual_mov_b32 v19, 0 :: v_dual_mov_b32 v18, 0
	;; [unrolled: 1-line block ×10, first 2 shown]
	v_mov_b32_e32 v1, 0
	s_waitcnt lgkmcnt(0)
	s_add_u32 s0, s0, s8
	s_mov_b32 s2, s15
	s_addc_u32 s1, s1, s9
	s_mov_b64 s[8:9], 0
.LBB23_1:                               ; =>This Inner Loop Header: Depth=1
	s_delay_alu instid0(SALU_CYCLE_1)
	s_cmp_eq_u32 s8, 1
	s_cselect_b32 vcc_lo, -1, 0
	s_cmp_eq_u32 s8, 2
	v_cndmask_b32_e32 v31, v25, v26, vcc_lo
	s_cselect_b32 vcc_lo, -1, 0
	s_cmp_eq_u32 s8, 3
	s_delay_alu instid0(VALU_DEP_1) | instskip(SKIP_2) | instid1(VALU_DEP_1)
	v_cndmask_b32_e32 v31, v31, v27, vcc_lo
	s_cselect_b32 vcc_lo, -1, 0
	s_cmp_eq_u32 s8, 4
	v_cndmask_b32_e32 v31, v31, v28, vcc_lo
	s_cselect_b32 vcc_lo, -1, 0
	s_cmp_eq_u32 s8, 5
	s_delay_alu instid0(VALU_DEP_1)
	v_cndmask_b32_e32 v31, v31, v29, vcc_lo
	s_cselect_b32 vcc_lo, -1, 0
	s_add_u32 s8, s8, 1
	s_addc_u32 s9, s9, 0
	s_cmp_eq_u32 s8, 6
	v_cndmask_b32_e32 v31, v31, v30, vcc_lo
	s_delay_alu instid0(VALU_DEP_1) | instskip(NEXT) | instid1(VALU_DEP_1)
	v_lshlrev_b32_e32 v35, 2, v31
	v_add_co_u32 v41, s3, s6, v35
	s_delay_alu instid0(VALU_DEP_1)
	v_add_co_ci_u32_e64 v42, null, s7, 0, s3
	s_clause 0x1
	global_load_b128 v[31:34], v35, s[0:1]
	global_load_b128 v[35:38], v35, s[6:7]
	v_add_co_u32 v39, vcc_lo, 0x3000, v41
	v_add_co_ci_u32_e32 v40, vcc_lo, 0, v42, vcc_lo
	v_add_co_u32 v43, vcc_lo, 0x6000, v41
	v_add_co_ci_u32_e32 v44, vcc_lo, 0, v42, vcc_lo
	;; [unrolled: 2-line block ×23, first 2 shown]
	s_clause 0x3
	global_load_b128 v[39:42], v[39:40], off
	global_load_b128 v[43:46], v[43:44], off
	;; [unrolled: 1-line block ×4, first 2 shown]
	s_waitcnt vmcnt(2)
	v_fmac_f32_e32 v22, v43, v31
	s_waitcnt vmcnt(0)
	v_fmac_f32_e32 v20, v51, v31
	s_delay_alu instid0(VALU_DEP_2) | instskip(NEXT) | instid1(VALU_DEP_2)
	v_dual_fmac_f32 v23, v39, v31 :: v_dual_fmac_f32 v22, v44, v32
	v_fmac_f32_e32 v20, v52, v32
	s_delay_alu instid0(VALU_DEP_2) | instskip(NEXT) | instid1(VALU_DEP_3)
	v_dual_fmac_f32 v24, v35, v31 :: v_dual_fmac_f32 v23, v40, v32
	v_fmac_f32_e32 v22, v45, v33
	s_delay_alu instid0(VALU_DEP_3) | instskip(NEXT) | instid1(VALU_DEP_3)
	v_fmac_f32_e32 v20, v53, v33
	v_dual_fmac_f32 v24, v36, v32 :: v_dual_fmac_f32 v23, v41, v33
	s_delay_alu instid0(VALU_DEP_3) | instskip(NEXT) | instid1(VALU_DEP_3)
	v_dual_fmac_f32 v21, v47, v31 :: v_dual_fmac_f32 v22, v46, v34
	v_fmac_f32_e32 v20, v54, v34
	s_delay_alu instid0(VALU_DEP_3) | instskip(NEXT) | instid1(VALU_DEP_1)
	v_dual_fmac_f32 v24, v37, v33 :: v_dual_fmac_f32 v23, v42, v34
	v_fmac_f32_e32 v24, v38, v34
	s_clause 0x3
	global_load_b128 v[35:38], v[55:56], off
	global_load_b128 v[55:58], v[57:58], off
	;; [unrolled: 1-line block ×4, first 2 shown]
	v_fmac_f32_e32 v21, v48, v32
	s_clause 0x1
	global_load_b128 v[43:46], v[63:64], off
	global_load_b128 v[63:66], v[65:66], off
	s_waitcnt vmcnt(4)
	v_dual_fmac_f32 v18, v55, v31 :: v_dual_fmac_f32 v21, v49, v33
	s_waitcnt vmcnt(2)
	v_fmac_f32_e32 v16, v59, v31
	s_waitcnt vmcnt(0)
	v_fmac_f32_e32 v14, v63, v31
	v_dual_fmac_f32 v15, v43, v31 :: v_dual_fmac_f32 v18, v56, v32
	v_fmac_f32_e32 v21, v50, v34
	s_clause 0x3
	global_load_b128 v[47:50], v[67:68], off
	global_load_b128 v[67:70], v[69:70], off
	;; [unrolled: 1-line block ×4, first 2 shown]
	v_fmac_f32_e32 v16, v60, v32
	v_dual_fmac_f32 v18, v57, v33 :: v_dual_fmac_f32 v19, v35, v31
	v_dual_fmac_f32 v17, v39, v31 :: v_dual_fmac_f32 v14, v64, v32
	s_delay_alu instid0(VALU_DEP_3) | instskip(NEXT) | instid1(VALU_DEP_3)
	v_fmac_f32_e32 v16, v61, v33
	v_dual_fmac_f32 v18, v58, v34 :: v_dual_fmac_f32 v19, v36, v32
	s_delay_alu instid0(VALU_DEP_3) | instskip(NEXT) | instid1(VALU_DEP_3)
	v_fmac_f32_e32 v17, v40, v32
	v_dual_fmac_f32 v15, v44, v32 :: v_dual_fmac_f32 v16, v62, v34
	v_fmac_f32_e32 v14, v65, v33
	s_delay_alu instid0(VALU_DEP_4) | instskip(NEXT) | instid1(VALU_DEP_2)
	v_fmac_f32_e32 v19, v37, v33
	v_dual_fmac_f32 v17, v41, v33 :: v_dual_fmac_f32 v14, v66, v34
	s_delay_alu instid0(VALU_DEP_2)
	v_fmac_f32_e32 v19, v38, v34
	s_clause 0x3
	global_load_b128 v[35:38], v[75:76], off
	global_load_b128 v[75:78], v[77:78], off
	;; [unrolled: 1-line block ×4, first 2 shown]
	v_fmac_f32_e32 v17, v42, v34
	s_clause 0x3
	global_load_b128 v[39:42], v[83:84], off
	global_load_b128 v[83:86], v[85:86], off
	;; [unrolled: 1-line block ×4, first 2 shown]
	s_waitcnt vmcnt(10)
	v_fmac_f32_e32 v12, v67, v31
	s_waitcnt vmcnt(8)
	v_dual_fmac_f32 v10, v71, v31 :: v_dual_fmac_f32 v15, v45, v33
	v_fmac_f32_e32 v13, v47, v31
	s_delay_alu instid0(VALU_DEP_3) | instskip(NEXT) | instid1(VALU_DEP_3)
	v_dual_fmac_f32 v11, v51, v31 :: v_dual_fmac_f32 v12, v68, v32
	v_fmac_f32_e32 v10, v72, v32
	s_delay_alu instid0(VALU_DEP_3) | instskip(NEXT) | instid1(VALU_DEP_3)
	v_fmac_f32_e32 v13, v48, v32
	v_dual_fmac_f32 v11, v52, v32 :: v_dual_fmac_f32 v12, v69, v33
	s_delay_alu instid0(VALU_DEP_3) | instskip(NEXT) | instid1(VALU_DEP_3)
	v_fmac_f32_e32 v10, v73, v33
	v_fmac_f32_e32 v13, v49, v33
	s_delay_alu instid0(VALU_DEP_3) | instskip(NEXT) | instid1(VALU_DEP_3)
	v_dual_fmac_f32 v11, v53, v33 :: v_dual_fmac_f32 v12, v70, v34
	v_fmac_f32_e32 v10, v74, v34
	s_delay_alu instid0(VALU_DEP_3) | instskip(SKIP_1) | instid1(VALU_DEP_3)
	v_fmac_f32_e32 v13, v50, v34
	s_waitcnt vmcnt(6)
	v_dual_fmac_f32 v11, v54, v34 :: v_dual_fmac_f32 v8, v75, v31
	s_waitcnt vmcnt(4)
	v_dual_fmac_f32 v15, v46, v34 :: v_dual_fmac_f32 v6, v79, v31
	global_load_b128 v[43:46], v[91:92], off
	v_dual_fmac_f32 v9, v35, v31 :: v_dual_fmac_f32 v8, v76, v32
	v_dual_fmac_f32 v7, v55, v31 :: v_dual_fmac_f32 v6, v80, v32
	s_waitcnt vmcnt(3)
	v_fmac_f32_e32 v4, v83, v31
	v_fmac_f32_e32 v5, v39, v31
	s_waitcnt vmcnt(1)
	v_fmac_f32_e32 v2, v87, v31
	v_fmac_f32_e32 v3, v59, v31
	;; [unrolled: 1-line block ×5, first 2 shown]
	v_dual_fmac_f32 v5, v40, v32 :: v_dual_fmac_f32 v8, v77, v33
	v_fmac_f32_e32 v2, v88, v32
	v_dual_fmac_f32 v3, v60, v32 :: v_dual_fmac_f32 v6, v81, v33
	v_fmac_f32_e32 v9, v37, v33
	s_delay_alu instid0(VALU_DEP_4) | instskip(NEXT) | instid1(VALU_DEP_3)
	v_dual_fmac_f32 v7, v57, v33 :: v_dual_fmac_f32 v8, v78, v34
	v_dual_fmac_f32 v5, v41, v33 :: v_dual_fmac_f32 v6, v82, v34
	v_fmac_f32_e32 v4, v85, v33
	v_fmac_f32_e32 v3, v61, v33
	v_dual_fmac_f32 v2, v89, v33 :: v_dual_fmac_f32 v9, v38, v34
	v_fmac_f32_e32 v7, v58, v34
	v_fmac_f32_e32 v5, v42, v34
	;; [unrolled: 1-line block ×4, first 2 shown]
	s_waitcnt vmcnt(0)
	v_dual_fmac_f32 v2, v90, v34 :: v_dual_fmac_f32 v1, v43, v31
	s_delay_alu instid0(VALU_DEP_1) | instskip(NEXT) | instid1(VALU_DEP_1)
	v_fmac_f32_e32 v1, v44, v32
	v_fmac_f32_e32 v1, v45, v33
	s_delay_alu instid0(VALU_DEP_1)
	v_fmac_f32_e32 v1, v46, v34
	s_cbranch_scc0 .LBB23_1
; %bb.2:
	v_mbcnt_lo_u32_b32 v28, -1, 0
	v_lshrrev_b32_e32 v32, 5, v0
	s_delay_alu instid0(VALU_DEP_2) | instskip(SKIP_1) | instid1(VALU_DEP_2)
	v_xor_b32_e32 v25, 16, v28
	v_xor_b32_e32 v26, 8, v28
	v_cmp_gt_i32_e32 vcc_lo, 32, v25
	v_cndmask_b32_e32 v25, v28, v25, vcc_lo
	s_delay_alu instid0(VALU_DEP_3) | instskip(SKIP_1) | instid1(VALU_DEP_1)
	v_cmp_gt_i32_e32 vcc_lo, 32, v26
	v_cndmask_b32_e32 v26, v28, v26, vcc_lo
	v_lshlrev_b32_e32 v26, 2, v26
	s_delay_alu instid0(VALU_DEP_4) | instskip(SKIP_4) | instid1(VALU_DEP_1)
	v_lshlrev_b32_e32 v25, 2, v25
	ds_bpermute_b32 v27, v25, v24
	s_waitcnt lgkmcnt(0)
	v_add_f32_e32 v27, v24, v27
	v_xor_b32_e32 v24, 4, v28
	v_cmp_gt_i32_e32 vcc_lo, 32, v24
	v_cndmask_b32_e32 v24, v28, v24, vcc_lo
	s_delay_alu instid0(VALU_DEP_1)
	v_lshlrev_b32_e32 v24, 2, v24
	ds_bpermute_b32 v29, v26, v27
	s_waitcnt lgkmcnt(0)
	v_add_f32_e32 v29, v27, v29
	v_xor_b32_e32 v27, 2, v28
	ds_bpermute_b32 v30, v24, v29
	v_cmp_gt_i32_e32 vcc_lo, 32, v27
	s_waitcnt lgkmcnt(0)
	v_dual_cndmask_b32 v27, v28, v27 :: v_dual_add_f32 v30, v29, v30
	v_xor_b32_e32 v29, 1, v28
	s_delay_alu instid0(VALU_DEP_1) | instskip(NEXT) | instid1(VALU_DEP_3)
	v_cmp_gt_i32_e32 vcc_lo, 32, v29
	v_dual_cndmask_b32 v28, v28, v29 :: v_dual_lshlrev_b32 v27, 2, v27
	ds_bpermute_b32 v31, v27, v30
	v_lshlrev_b32_e32 v29, 2, v28
	v_and_b32_e32 v28, 31, v0
	s_delay_alu instid0(VALU_DEP_1)
	v_cmp_eq_u32_e32 vcc_lo, 0, v28
	v_lshlrev_b32_e32 v28, 2, v32
	s_waitcnt lgkmcnt(0)
	v_add_f32_e32 v30, v30, v31
	ds_bpermute_b32 v31, v29, v30
	s_and_saveexec_b32 s0, vcc_lo
	s_cbranch_execz .LBB23_4
; %bb.3:
	s_waitcnt lgkmcnt(0)
	v_add_f32_e32 v30, v30, v31
	ds_store_b32 v28, v30
.LBB23_4:
	s_or_b32 exec_lo, exec_lo, s0
	ds_bpermute_b32 v30, v25, v23
	s_waitcnt lgkmcnt(0)
	v_add_f32_e32 v23, v23, v30
	ds_bpermute_b32 v30, v26, v23
	s_waitcnt lgkmcnt(0)
	v_add_f32_e32 v23, v23, v30
	ds_bpermute_b32 v30, v24, v23
	s_waitcnt lgkmcnt(0)
	v_add_f32_e32 v23, v23, v30
	ds_bpermute_b32 v30, v27, v23
	s_waitcnt lgkmcnt(0)
	v_add_f32_e32 v23, v23, v30
	ds_bpermute_b32 v30, v29, v23
	s_and_saveexec_b32 s0, vcc_lo
	s_cbranch_execz .LBB23_6
; %bb.5:
	s_waitcnt lgkmcnt(0)
	v_add_f32_e32 v23, v23, v30
	ds_store_b32 v28, v23 offset:16
.LBB23_6:
	s_or_b32 exec_lo, exec_lo, s0
	ds_bpermute_b32 v23, v25, v22
	s_waitcnt lgkmcnt(0)
	v_add_f32_e32 v22, v22, v23
	ds_bpermute_b32 v23, v26, v22
	s_waitcnt lgkmcnt(0)
	v_add_f32_e32 v22, v22, v23
	ds_bpermute_b32 v23, v24, v22
	s_waitcnt lgkmcnt(0)
	v_add_f32_e32 v22, v22, v23
	ds_bpermute_b32 v23, v27, v22
	s_waitcnt lgkmcnt(0)
	v_add_f32_e32 v22, v22, v23
	ds_bpermute_b32 v23, v29, v22
	s_and_saveexec_b32 s0, vcc_lo
	s_cbranch_execz .LBB23_8
; %bb.7:
	s_waitcnt lgkmcnt(0)
	v_add_f32_e32 v22, v22, v23
	ds_store_b32 v28, v22 offset:32
.LBB23_8:
	;; [unrolled: 21-line block ×23, first 2 shown]
	s_or_b32 exec_lo, exec_lo, s0
	s_waitcnt lgkmcnt(0)
	s_barrier
	buffer_gl0_inv
	s_mov_b32 s0, exec_lo
	v_cmpx_eq_u32_e32 0, v0
	s_cbranch_execz .LBB23_52
; %bb.51:
	v_mov_b32_e32 v40, 0
	s_ashr_i32 s3, s2, 31
	ds_load_b128 v[0:3], v40
	ds_load_b128 v[4:7], v40 offset:16
	ds_load_b128 v[8:11], v40 offset:32
	;; [unrolled: 1-line block ×8, first 2 shown]
	s_lshl_b64 s[0:1], s[2:3], 2
	s_delay_alu instid0(SALU_CYCLE_1)
	s_add_u32 s0, s4, s0
	s_addc_u32 s1, s5, s1
	s_waitcnt lgkmcnt(5)
	v_add_f32_e32 v12, 0, v12
	v_add_f32_e32 v0, 0, v0
	s_waitcnt lgkmcnt(3)
	v_add_f32_e32 v20, 0, v20
	v_add_f32_e32 v4, 0, v4
	;; [unrolled: 3-line block ×3, first 2 shown]
	v_add_f32_e32 v0, v0, v1
	v_dual_add_f32 v16, 0, v16 :: v_dual_add_f32 v1, v4, v5
	ds_load_b128 v[36:39], v40 offset:144
	v_add_f32_e32 v0, v0, v2
	v_add_f32_e32 v1, v1, v6
	;; [unrolled: 1-line block ×12, first 2 shown]
	s_delay_alu instid0(VALU_DEP_1) | instskip(NEXT) | instid1(VALU_DEP_4)
	v_add_f32_e32 v12, v24, v25
	v_add_f32_e32 v24, v2, v11
	ds_load_b128 v[0:3], v40 offset:160
	v_add_f32_e32 v8, v16, v17
	s_waitcnt lgkmcnt(1)
	v_dual_add_f32 v25, v4, v15 :: v_dual_add_f32 v30, 0, v36
	s_delay_alu instid0(VALU_DEP_2) | instskip(NEXT) | instid1(VALU_DEP_1)
	v_add_f32_e32 v5, v8, v18
	v_dual_add_f32 v28, v5, v19 :: v_dual_add_f32 v5, v12, v26
	s_delay_alu instid0(VALU_DEP_1) | instskip(SKIP_2) | instid1(VALU_DEP_1)
	v_add_f32_e32 v26, v5, v27
	s_waitcnt lgkmcnt(0)
	v_dual_add_f32 v27, v6, v31 :: v_dual_add_f32 v0, 0, v0
	v_add_f32_e32 v0, v0, v1
	s_delay_alu instid0(VALU_DEP_1) | instskip(SKIP_1) | instid1(VALU_DEP_1)
	v_add_f32_e32 v0, v0, v2
	v_add_f32_e32 v4, v9, v22
	v_dual_add_f32 v32, 0, v32 :: v_dual_add_f32 v23, v4, v23
	s_delay_alu instid0(VALU_DEP_1) | instskip(NEXT) | instid1(VALU_DEP_1)
	v_add_f32_e32 v7, v32, v33
	v_add_f32_e32 v29, v7, v34
	ds_load_b128 v[4:7], v40 offset:176
	ds_load_b128 v[8:11], v40 offset:192
	;; [unrolled: 1-line block ×4, first 2 shown]
	v_mov_b32_e32 v22, 0x1000
	s_clause 0x7
	global_store_b32 v40, v20, s[0:1]
	global_store_b32 v40, v21, s[0:1] offset:1024
	global_store_b32 v40, v24, s[0:1] offset:2048
	;; [unrolled: 1-line block ×3, first 2 shown]
	global_store_b32 v22, v28, s[0:1]
	global_store_b32 v22, v23, s[0:1] offset:1024
	global_store_b32 v22, v26, s[0:1] offset:2048
	;; [unrolled: 1-line block ×3, first 2 shown]
	v_add_f32_e32 v24, v30, v37
	ds_load_b128 v[20:23], v40 offset:240
	v_add_f32_e32 v36, v29, v35
	ds_load_b128 v[32:35], v40 offset:288
	v_dual_mov_b32 v37, 0x2000 :: v_dual_add_f32 v28, v24, v38
	ds_load_b128 v[24:27], v40 offset:256
	v_add_f32_e32 v38, v28, v39
	ds_load_b128 v[28:31], v40 offset:272
	v_add_f32_e32 v39, v0, v3
	s_waitcnt lgkmcnt(7)
	v_add_f32_e32 v1, 0, v4
	s_waitcnt lgkmcnt(6)
	s_delay_alu instid0(VALU_DEP_1) | instskip(NEXT) | instid1(VALU_DEP_1)
	v_dual_add_f32 v4, 0, v8 :: v_dual_add_f32 v1, v1, v5
	v_add_f32_e32 v2, v4, v9
	s_waitcnt lgkmcnt(5)
	v_add_f32_e32 v4, 0, v12
	s_waitcnt lgkmcnt(4)
	;; [unrolled: 2-line block ×3, first 2 shown]
	v_add_f32_e32 v8, 0, v32
	v_add_f32_e32 v0, v1, v6
	v_dual_add_f32 v1, v2, v10 :: v_dual_add_f32 v2, v4, v13
	v_dual_add_f32 v3, v5, v17 :: v_dual_add_f32 v4, 0, v20
	s_delay_alu instid0(VALU_DEP_3) | instskip(NEXT) | instid1(VALU_DEP_3)
	v_add_f32_e32 v20, v0, v7
	v_dual_add_f32 v41, v1, v11 :: v_dual_add_f32 v0, v2, v14
	s_delay_alu instid0(VALU_DEP_3)
	v_dual_add_f32 v1, v3, v18 :: v_dual_add_f32 v2, v4, v21
	s_waitcnt lgkmcnt(1)
	v_add_f32_e32 v3, 0, v24
	s_waitcnt lgkmcnt(0)
	v_add_f32_e32 v6, 0, v28
	v_add_f32_e32 v24, v0, v15
	;; [unrolled: 1-line block ×3, first 2 shown]
	v_dual_add_f32 v4, v2, v22 :: v_dual_add_f32 v5, v3, v25
	ds_load_b128 v[0:3], v40 offset:304
	v_add_f32_e32 v25, v6, v29
	v_dual_mov_b32 v21, 0x3000 :: v_dual_add_f32 v22, v4, v23
	v_add_f32_e32 v23, v5, v26
	ds_load_b128 v[4:7], v40 offset:320
	v_add_f32_e32 v26, v8, v33
	ds_load_b128 v[8:11], v40 offset:336
	ds_load_b128 v[12:15], v40 offset:352
	;; [unrolled: 1-line block ×3, first 2 shown]
	s_waitcnt lgkmcnt(4)
	v_add_f32_e32 v0, 0, v0
	s_waitcnt lgkmcnt(3)
	v_add_f32_e32 v4, 0, v4
	s_waitcnt lgkmcnt(2)
	s_delay_alu instid0(VALU_DEP_2)
	v_dual_add_f32 v0, v0, v1 :: v_dual_add_f32 v1, 0, v8
	s_waitcnt lgkmcnt(1)
	v_add_f32_e32 v8, 0, v12
	s_waitcnt lgkmcnt(0)
	v_add_f32_e32 v12, 0, v16
	v_add_f32_e32 v4, v4, v5
	v_dual_add_f32 v0, v0, v2 :: v_dual_add_f32 v1, v1, v9
	v_add_f32_e32 v2, v8, v13
	s_delay_alu instid0(VALU_DEP_4)
	v_add_f32_e32 v5, v12, v17
	s_clause 0x7
	global_store_b32 v37, v36, s[0:1]
	global_store_b32 v37, v38, s[0:1] offset:1024
	global_store_b32 v37, v39, s[0:1] offset:2048
	;; [unrolled: 1-line block ×3, first 2 shown]
	global_store_b32 v21, v41, s[0:1]
	global_store_b32 v21, v24, s[0:1] offset:1024
	global_store_b32 v21, v42, s[0:1] offset:2048
	;; [unrolled: 1-line block ×3, first 2 shown]
	v_add_f32_e32 v20, v25, v30
	v_add_f32_e32 v21, v26, v34
	;; [unrolled: 1-line block ×3, first 2 shown]
	v_dual_add_f32 v22, v23, v27 :: v_dual_mov_b32 v23, 0x4000
	v_dual_add_f32 v0, v0, v3 :: v_dual_add_f32 v1, v1, v10
	v_add_f32_e32 v2, v2, v14
	v_dual_add_f32 v3, v5, v18 :: v_dual_add_f32 v20, v20, v31
	v_add_f32_e32 v21, v21, v35
	v_dual_add_f32 v4, v4, v7 :: v_dual_mov_b32 v5, 0x5000
	v_add_f32_e32 v1, v1, v11
	v_add_f32_e32 v2, v2, v15
	;; [unrolled: 1-line block ×3, first 2 shown]
	s_clause 0x7
	global_store_b32 v23, v22, s[0:1]
	global_store_b32 v23, v20, s[0:1] offset:1024
	global_store_b32 v23, v21, s[0:1] offset:2048
	;; [unrolled: 1-line block ×3, first 2 shown]
	global_store_b32 v5, v4, s[0:1]
	global_store_b32 v5, v1, s[0:1] offset:1024
	global_store_b32 v5, v2, s[0:1] offset:2048
	;; [unrolled: 1-line block ×3, first 2 shown]
.LBB23_52:
	s_nop 0
	s_sendmsg sendmsg(MSG_DEALLOC_VGPRS)
	s_endpgm
	.section	.rodata,"a",@progbits
	.p2align	6, 0x0
	.amdhsa_kernel _Z23fp32_router_gemm_kernelIfLi128ELi24ELi256ELi3072EEvPfPKT_PKf
		.amdhsa_group_segment_fixed_size 384
		.amdhsa_private_segment_fixed_size 0
		.amdhsa_kernarg_size 24
		.amdhsa_user_sgpr_count 15
		.amdhsa_user_sgpr_dispatch_ptr 0
		.amdhsa_user_sgpr_queue_ptr 0
		.amdhsa_user_sgpr_kernarg_segment_ptr 1
		.amdhsa_user_sgpr_dispatch_id 0
		.amdhsa_user_sgpr_private_segment_size 0
		.amdhsa_wavefront_size32 1
		.amdhsa_uses_dynamic_stack 0
		.amdhsa_enable_private_segment 0
		.amdhsa_system_sgpr_workgroup_id_x 1
		.amdhsa_system_sgpr_workgroup_id_y 0
		.amdhsa_system_sgpr_workgroup_id_z 0
		.amdhsa_system_sgpr_workgroup_info 0
		.amdhsa_system_vgpr_workitem_id 0
		.amdhsa_next_free_vgpr 93
		.amdhsa_next_free_sgpr 16
		.amdhsa_reserve_vcc 1
		.amdhsa_float_round_mode_32 0
		.amdhsa_float_round_mode_16_64 0
		.amdhsa_float_denorm_mode_32 3
		.amdhsa_float_denorm_mode_16_64 3
		.amdhsa_dx10_clamp 1
		.amdhsa_ieee_mode 1
		.amdhsa_fp16_overflow 0
		.amdhsa_workgroup_processor_mode 1
		.amdhsa_memory_ordered 1
		.amdhsa_forward_progress 0
		.amdhsa_shared_vgpr_count 0
		.amdhsa_exception_fp_ieee_invalid_op 0
		.amdhsa_exception_fp_denorm_src 0
		.amdhsa_exception_fp_ieee_div_zero 0
		.amdhsa_exception_fp_ieee_overflow 0
		.amdhsa_exception_fp_ieee_underflow 0
		.amdhsa_exception_fp_ieee_inexact 0
		.amdhsa_exception_int_div_zero 0
	.end_amdhsa_kernel
	.section	.text._Z23fp32_router_gemm_kernelIfLi128ELi24ELi256ELi3072EEvPfPKT_PKf,"axG",@progbits,_Z23fp32_router_gemm_kernelIfLi128ELi24ELi256ELi3072EEvPfPKT_PKf,comdat
.Lfunc_end23:
	.size	_Z23fp32_router_gemm_kernelIfLi128ELi24ELi256ELi3072EEvPfPKT_PKf, .Lfunc_end23-_Z23fp32_router_gemm_kernelIfLi128ELi24ELi256ELi3072EEvPfPKT_PKf
                                        ; -- End function
	.section	.AMDGPU.csdata,"",@progbits
; Kernel info:
; codeLenInByte = 4932
; NumSgprs: 18
; NumVgprs: 93
; ScratchSize: 0
; MemoryBound: 0
; FloatMode: 240
; IeeeMode: 1
; LDSByteSize: 384 bytes/workgroup (compile time only)
; SGPRBlocks: 2
; VGPRBlocks: 11
; NumSGPRsForWavesPerEU: 18
; NumVGPRsForWavesPerEU: 93
; Occupancy: 16
; WaveLimiterHint : 1
; COMPUTE_PGM_RSRC2:SCRATCH_EN: 0
; COMPUTE_PGM_RSRC2:USER_SGPR: 15
; COMPUTE_PGM_RSRC2:TRAP_HANDLER: 0
; COMPUTE_PGM_RSRC2:TGID_X_EN: 1
; COMPUTE_PGM_RSRC2:TGID_Y_EN: 0
; COMPUTE_PGM_RSRC2:TGID_Z_EN: 0
; COMPUTE_PGM_RSRC2:TIDIG_COMP_CNT: 0
	.section	.text._Z23fp32_router_gemm_kernelIfLi128ELi25ELi256ELi3072EEvPfPKT_PKf,"axG",@progbits,_Z23fp32_router_gemm_kernelIfLi128ELi25ELi256ELi3072EEvPfPKT_PKf,comdat
	.protected	_Z23fp32_router_gemm_kernelIfLi128ELi25ELi256ELi3072EEvPfPKT_PKf ; -- Begin function _Z23fp32_router_gemm_kernelIfLi128ELi25ELi256ELi3072EEvPfPKT_PKf
	.globl	_Z23fp32_router_gemm_kernelIfLi128ELi25ELi256ELi3072EEvPfPKT_PKf
	.p2align	8
	.type	_Z23fp32_router_gemm_kernelIfLi128ELi25ELi256ELi3072EEvPfPKT_PKf,@function
_Z23fp32_router_gemm_kernelIfLi128ELi25ELi256ELi3072EEvPfPKT_PKf: ; @_Z23fp32_router_gemm_kernelIfLi128ELi25ELi256ELi3072EEvPfPKT_PKf
; %bb.0:
	s_clause 0x1
	s_load_b128 s[4:7], s[0:1], 0x0
	s_load_b64 s[0:1], s[0:1], 0x10
	v_dual_mov_b32 v25, 0 :: v_dual_lshlrev_b32 v26, 2, v0
	s_mul_i32 s8, s15, 0xc00
	v_dual_mov_b32 v24, 0 :: v_dual_mov_b32 v23, 0
	s_ashr_i32 s9, s8, 31
	s_delay_alu instid0(VALU_DEP_2)
	v_or_b32_e32 v27, 0x200, v26
	v_or_b32_e32 v28, 0x400, v26
	;; [unrolled: 1-line block ×5, first 2 shown]
	s_lshl_b64 s[8:9], s[8:9], 2
	v_dual_mov_b32 v22, 0 :: v_dual_mov_b32 v21, 0
	v_dual_mov_b32 v20, 0 :: v_dual_mov_b32 v19, 0
	;; [unrolled: 1-line block ×11, first 2 shown]
	s_waitcnt lgkmcnt(0)
	s_add_u32 s0, s0, s8
	s_mov_b32 s2, s15
	s_addc_u32 s1, s1, s9
	s_mov_b64 s[8:9], 0
.LBB24_1:                               ; =>This Inner Loop Header: Depth=1
	s_delay_alu instid0(SALU_CYCLE_1)
	s_cmp_eq_u32 s8, 1
	s_cselect_b32 vcc_lo, -1, 0
	s_cmp_eq_u32 s8, 2
	v_cndmask_b32_e32 v32, v26, v27, vcc_lo
	s_cselect_b32 vcc_lo, -1, 0
	s_cmp_eq_u32 s8, 3
	s_delay_alu instid0(VALU_DEP_1) | instskip(SKIP_2) | instid1(VALU_DEP_1)
	v_cndmask_b32_e32 v32, v32, v28, vcc_lo
	s_cselect_b32 vcc_lo, -1, 0
	s_cmp_eq_u32 s8, 4
	v_cndmask_b32_e32 v32, v32, v29, vcc_lo
	s_cselect_b32 vcc_lo, -1, 0
	s_cmp_eq_u32 s8, 5
	s_delay_alu instid0(VALU_DEP_1)
	v_cndmask_b32_e32 v32, v32, v30, vcc_lo
	s_cselect_b32 vcc_lo, -1, 0
	s_add_u32 s8, s8, 1
	s_addc_u32 s9, s9, 0
	s_cmp_eq_u32 s8, 6
	v_cndmask_b32_e32 v32, v32, v31, vcc_lo
	s_delay_alu instid0(VALU_DEP_1) | instskip(SKIP_4) | instid1(VALU_DEP_1)
	v_lshlrev_b32_e32 v40, 2, v32
	s_clause 0x1
	global_load_b128 v[32:35], v40, s[0:1]
	global_load_b128 v[36:39], v40, s[6:7]
	v_add_co_u32 v42, s3, s6, v40
	v_add_co_ci_u32_e64 v43, null, s7, 0, s3
	s_delay_alu instid0(VALU_DEP_2) | instskip(NEXT) | instid1(VALU_DEP_2)
	v_add_co_u32 v40, vcc_lo, 0x3000, v42
	v_add_co_ci_u32_e32 v41, vcc_lo, 0, v43, vcc_lo
	v_add_co_u32 v44, vcc_lo, 0x6000, v42
	v_add_co_ci_u32_e32 v45, vcc_lo, 0, v43, vcc_lo
	v_add_co_u32 v48, vcc_lo, 0x9000, v42
	v_add_co_ci_u32_e32 v49, vcc_lo, 0, v43, vcc_lo
	v_add_co_u32 v50, vcc_lo, 0xc000, v42
	v_add_co_ci_u32_e32 v51, vcc_lo, 0, v43, vcc_lo
	v_add_co_u32 v52, vcc_lo, 0xf000, v42
	v_add_co_ci_u32_e32 v53, vcc_lo, 0, v43, vcc_lo
	v_add_co_u32 v54, vcc_lo, 0x12000, v42
	v_add_co_ci_u32_e32 v55, vcc_lo, 0, v43, vcc_lo
	v_add_co_u32 v56, vcc_lo, 0x15000, v42
	v_add_co_ci_u32_e32 v57, vcc_lo, 0, v43, vcc_lo
	v_add_co_u32 v58, vcc_lo, 0x18000, v42
	v_add_co_ci_u32_e32 v59, vcc_lo, 0, v43, vcc_lo
	v_add_co_u32 v60, vcc_lo, 0x1b000, v42
	v_add_co_ci_u32_e32 v61, vcc_lo, 0, v43, vcc_lo
	v_add_co_u32 v62, vcc_lo, 0x1e000, v42
	v_add_co_ci_u32_e32 v63, vcc_lo, 0, v43, vcc_lo
	v_add_co_u32 v64, vcc_lo, 0x21000, v42
	v_add_co_ci_u32_e32 v65, vcc_lo, 0, v43, vcc_lo
	v_add_co_u32 v66, vcc_lo, 0x24000, v42
	v_add_co_ci_u32_e32 v67, vcc_lo, 0, v43, vcc_lo
	v_add_co_u32 v68, vcc_lo, 0x27000, v42
	v_add_co_ci_u32_e32 v69, vcc_lo, 0, v43, vcc_lo
	v_add_co_u32 v70, vcc_lo, 0x2a000, v42
	v_add_co_ci_u32_e32 v71, vcc_lo, 0, v43, vcc_lo
	v_add_co_u32 v72, vcc_lo, 0x2d000, v42
	v_add_co_ci_u32_e32 v73, vcc_lo, 0, v43, vcc_lo
	v_add_co_u32 v74, vcc_lo, 0x30000, v42
	v_add_co_ci_u32_e32 v75, vcc_lo, 0, v43, vcc_lo
	v_add_co_u32 v76, vcc_lo, 0x33000, v42
	v_add_co_ci_u32_e32 v77, vcc_lo, 0, v43, vcc_lo
	v_add_co_u32 v78, vcc_lo, 0x36000, v42
	v_add_co_ci_u32_e32 v79, vcc_lo, 0, v43, vcc_lo
	v_add_co_u32 v80, vcc_lo, 0x39000, v42
	v_add_co_ci_u32_e32 v81, vcc_lo, 0, v43, vcc_lo
	v_add_co_u32 v82, vcc_lo, 0x3c000, v42
	v_add_co_ci_u32_e32 v83, vcc_lo, 0, v43, vcc_lo
	v_add_co_u32 v84, vcc_lo, 0x3f000, v42
	v_add_co_ci_u32_e32 v85, vcc_lo, 0, v43, vcc_lo
	v_add_co_u32 v86, vcc_lo, 0x42000, v42
	v_add_co_ci_u32_e32 v87, vcc_lo, 0, v43, vcc_lo
	v_add_co_u32 v88, vcc_lo, 0x45000, v42
	v_add_co_ci_u32_e32 v89, vcc_lo, 0, v43, vcc_lo
	v_add_co_u32 v90, vcc_lo, 0x48000, v42
	v_add_co_ci_u32_e32 v91, vcc_lo, 0, v43, vcc_lo
	s_clause 0x1
	global_load_b128 v[40:43], v[40:41], off
	global_load_b128 v[44:47], v[44:45], off
	s_waitcnt vmcnt(1)
	v_fmac_f32_e32 v24, v40, v32
	v_fmac_f32_e32 v25, v36, v32
	s_waitcnt vmcnt(0)
	s_delay_alu instid0(VALU_DEP_2) | instskip(NEXT) | instid1(VALU_DEP_2)
	v_dual_fmac_f32 v23, v44, v32 :: v_dual_fmac_f32 v24, v41, v33
	v_fmac_f32_e32 v25, v37, v33
	s_delay_alu instid0(VALU_DEP_2) | instskip(NEXT) | instid1(VALU_DEP_2)
	v_dual_fmac_f32 v23, v45, v33 :: v_dual_fmac_f32 v24, v42, v34
	v_fmac_f32_e32 v25, v38, v34
	s_delay_alu instid0(VALU_DEP_2) | instskip(NEXT) | instid1(VALU_DEP_2)
	v_fmac_f32_e32 v23, v46, v34
	v_fmac_f32_e32 v25, v39, v35
	s_clause 0x1
	global_load_b128 v[36:39], v[48:49], off
	global_load_b128 v[48:51], v[50:51], off
	v_fmac_f32_e32 v24, v43, v35
	s_clause 0x1
	global_load_b128 v[40:43], v[52:53], off
	global_load_b128 v[52:55], v[54:55], off
	;; [unrolled: 4-line block ×3, first 2 shown]
	s_waitcnt vmcnt(4)
	v_fmac_f32_e32 v21, v48, v32
	s_waitcnt vmcnt(2)
	v_fmac_f32_e32 v19, v52, v32
	;; [unrolled: 2-line block ×3, first 2 shown]
	v_dual_fmac_f32 v21, v49, v33 :: v_dual_fmac_f32 v22, v36, v32
	s_delay_alu instid0(VALU_DEP_3) | instskip(NEXT) | instid1(VALU_DEP_3)
	v_dual_fmac_f32 v19, v53, v33 :: v_dual_fmac_f32 v20, v40, v32
	v_fmac_f32_e32 v17, v57, v33
	s_delay_alu instid0(VALU_DEP_3) | instskip(NEXT) | instid1(VALU_DEP_3)
	v_dual_fmac_f32 v21, v50, v34 :: v_dual_fmac_f32 v22, v37, v33
	v_dual_fmac_f32 v19, v54, v34 :: v_dual_fmac_f32 v20, v41, v33
	s_delay_alu instid0(VALU_DEP_3) | instskip(NEXT) | instid1(VALU_DEP_3)
	v_dual_fmac_f32 v18, v44, v32 :: v_dual_fmac_f32 v17, v58, v34
	v_dual_fmac_f32 v21, v51, v35 :: v_dual_fmac_f32 v22, v38, v34
	;; [unrolled: 3-line block ×3, first 2 shown]
	s_delay_alu instid0(VALU_DEP_3)
	v_fmac_f32_e32 v22, v39, v35
	s_clause 0x3
	global_load_b128 v[36:39], v[60:61], off
	global_load_b128 v[60:63], v[62:63], off
	;; [unrolled: 1-line block ×4, first 2 shown]
	v_fmac_f32_e32 v20, v43, v35
	v_fmac_f32_e32 v18, v46, v34
	s_clause 0x3
	global_load_b128 v[40:43], v[68:69], off
	global_load_b128 v[68:71], v[70:71], off
	;; [unrolled: 1-line block ×4, first 2 shown]
	s_waitcnt vmcnt(6)
	v_dual_fmac_f32 v15, v60, v32 :: v_dual_fmac_f32 v18, v47, v35
	s_clause 0x3
	global_load_b128 v[44:47], v[76:77], off
	global_load_b128 v[76:79], v[78:79], off
	;; [unrolled: 1-line block ×4, first 2 shown]
	s_waitcnt vmcnt(8)
	v_fmac_f32_e32 v13, v64, v32
	v_dual_fmac_f32 v15, v61, v33 :: v_dual_fmac_f32 v16, v36, v32
	v_fmac_f32_e32 v14, v48, v32
	s_waitcnt vmcnt(6)
	v_fmac_f32_e32 v11, v68, v32
	v_fmac_f32_e32 v13, v65, v33
	v_dual_fmac_f32 v15, v62, v34 :: v_dual_fmac_f32 v16, v37, v33
	s_delay_alu instid0(VALU_DEP_3) | instskip(SKIP_2) | instid1(VALU_DEP_3)
	v_dual_fmac_f32 v12, v40, v32 :: v_dual_fmac_f32 v11, v69, v33
	s_waitcnt vmcnt(4)
	v_dual_fmac_f32 v9, v72, v32 :: v_dual_fmac_f32 v14, v49, v33
	v_dual_fmac_f32 v15, v63, v35 :: v_dual_fmac_f32 v16, v38, v34
	s_delay_alu instid0(VALU_DEP_2) | instskip(SKIP_1) | instid1(VALU_DEP_3)
	v_dual_fmac_f32 v10, v52, v32 :: v_dual_fmac_f32 v9, v73, v33
	v_dual_fmac_f32 v12, v41, v33 :: v_dual_fmac_f32 v13, v66, v34
	v_fmac_f32_e32 v16, v39, v35
	s_clause 0x3
	global_load_b128 v[36:39], v[84:85], off
	global_load_b128 v[84:87], v[86:87], off
	;; [unrolled: 1-line block ×4, first 2 shown]
	v_fmac_f32_e32 v10, v53, v33
	v_dual_fmac_f32 v14, v50, v34 :: v_dual_fmac_f32 v13, v67, v35
	v_fmac_f32_e32 v11, v70, v34
	v_fmac_f32_e32 v12, v42, v34
	s_delay_alu instid0(VALU_DEP_3) | instskip(NEXT) | instid1(VALU_DEP_3)
	v_dual_fmac_f32 v9, v74, v34 :: v_dual_fmac_f32 v14, v51, v35
	v_dual_fmac_f32 v10, v54, v34 :: v_dual_fmac_f32 v11, v71, v35
	s_delay_alu instid0(VALU_DEP_3) | instskip(NEXT) | instid1(VALU_DEP_3)
	v_fmac_f32_e32 v12, v43, v35
	v_fmac_f32_e32 v9, v75, v35
	s_waitcnt vmcnt(6)
	s_delay_alu instid0(VALU_DEP_3) | instskip(SKIP_3) | instid1(VALU_DEP_3)
	v_dual_fmac_f32 v10, v55, v35 :: v_dual_fmac_f32 v7, v76, v32
	v_fmac_f32_e32 v8, v44, v32
	s_waitcnt vmcnt(4)
	v_fmac_f32_e32 v5, v80, v32
	v_dual_fmac_f32 v6, v56, v32 :: v_dual_fmac_f32 v7, v77, v33
	s_delay_alu instid0(VALU_DEP_3) | instskip(NEXT) | instid1(VALU_DEP_3)
	v_fmac_f32_e32 v8, v45, v33
	v_fmac_f32_e32 v5, v81, v33
	s_delay_alu instid0(VALU_DEP_3) | instskip(NEXT) | instid1(VALU_DEP_3)
	v_dual_fmac_f32 v6, v57, v33 :: v_dual_fmac_f32 v7, v78, v34
	v_fmac_f32_e32 v8, v46, v34
	s_delay_alu instid0(VALU_DEP_3) | instskip(NEXT) | instid1(VALU_DEP_3)
	v_fmac_f32_e32 v5, v82, v34
	v_dual_fmac_f32 v6, v58, v34 :: v_dual_fmac_f32 v7, v79, v35
	s_delay_alu instid0(VALU_DEP_3) | instskip(NEXT) | instid1(VALU_DEP_3)
	v_fmac_f32_e32 v8, v47, v35
	v_fmac_f32_e32 v5, v83, v35
	s_waitcnt vmcnt(2)
	s_delay_alu instid0(VALU_DEP_3) | instskip(SKIP_3) | instid1(VALU_DEP_3)
	v_dual_fmac_f32 v6, v59, v35 :: v_dual_fmac_f32 v3, v84, v32
	v_fmac_f32_e32 v4, v36, v32
	s_waitcnt vmcnt(0)
	v_fmac_f32_e32 v1, v88, v32
	v_dual_fmac_f32 v2, v60, v32 :: v_dual_fmac_f32 v3, v85, v33
	s_delay_alu instid0(VALU_DEP_3) | instskip(NEXT) | instid1(VALU_DEP_3)
	v_fmac_f32_e32 v4, v37, v33
	v_fmac_f32_e32 v1, v89, v33
	s_delay_alu instid0(VALU_DEP_3) | instskip(NEXT) | instid1(VALU_DEP_3)
	v_dual_fmac_f32 v2, v61, v33 :: v_dual_fmac_f32 v3, v86, v34
	v_fmac_f32_e32 v4, v38, v34
	s_delay_alu instid0(VALU_DEP_3) | instskip(NEXT) | instid1(VALU_DEP_3)
	v_fmac_f32_e32 v1, v90, v34
	v_dual_fmac_f32 v2, v62, v34 :: v_dual_fmac_f32 v3, v87, v35
	s_delay_alu instid0(VALU_DEP_3) | instskip(NEXT) | instid1(VALU_DEP_3)
	v_fmac_f32_e32 v4, v39, v35
	v_fmac_f32_e32 v1, v91, v35
	s_delay_alu instid0(VALU_DEP_3)
	v_fmac_f32_e32 v2, v63, v35
	s_cbranch_scc0 .LBB24_1
; %bb.2:
	v_mbcnt_lo_u32_b32 v29, -1, 0
	v_lshrrev_b32_e32 v33, 5, v0
	s_delay_alu instid0(VALU_DEP_2) | instskip(SKIP_1) | instid1(VALU_DEP_2)
	v_xor_b32_e32 v26, 16, v29
	v_xor_b32_e32 v27, 8, v29
	v_cmp_gt_i32_e32 vcc_lo, 32, v26
	v_cndmask_b32_e32 v26, v29, v26, vcc_lo
	s_delay_alu instid0(VALU_DEP_3) | instskip(SKIP_1) | instid1(VALU_DEP_1)
	v_cmp_gt_i32_e32 vcc_lo, 32, v27
	v_cndmask_b32_e32 v27, v29, v27, vcc_lo
	v_lshlrev_b32_e32 v27, 2, v27
	s_delay_alu instid0(VALU_DEP_4) | instskip(SKIP_4) | instid1(VALU_DEP_1)
	v_lshlrev_b32_e32 v26, 2, v26
	ds_bpermute_b32 v28, v26, v25
	s_waitcnt lgkmcnt(0)
	v_add_f32_e32 v28, v25, v28
	v_xor_b32_e32 v25, 4, v29
	v_cmp_gt_i32_e32 vcc_lo, 32, v25
	v_cndmask_b32_e32 v25, v29, v25, vcc_lo
	s_delay_alu instid0(VALU_DEP_1)
	v_lshlrev_b32_e32 v25, 2, v25
	ds_bpermute_b32 v30, v27, v28
	s_waitcnt lgkmcnt(0)
	v_add_f32_e32 v30, v28, v30
	v_xor_b32_e32 v28, 2, v29
	ds_bpermute_b32 v31, v25, v30
	v_cmp_gt_i32_e32 vcc_lo, 32, v28
	s_waitcnt lgkmcnt(0)
	v_dual_cndmask_b32 v28, v29, v28 :: v_dual_add_f32 v31, v30, v31
	v_xor_b32_e32 v30, 1, v29
	s_delay_alu instid0(VALU_DEP_1) | instskip(NEXT) | instid1(VALU_DEP_3)
	v_cmp_gt_i32_e32 vcc_lo, 32, v30
	v_dual_cndmask_b32 v29, v29, v30 :: v_dual_lshlrev_b32 v28, 2, v28
	ds_bpermute_b32 v32, v28, v31
	v_lshlrev_b32_e32 v30, 2, v29
	v_and_b32_e32 v29, 31, v0
	s_delay_alu instid0(VALU_DEP_1)
	v_cmp_eq_u32_e32 vcc_lo, 0, v29
	v_lshlrev_b32_e32 v29, 2, v33
	s_waitcnt lgkmcnt(0)
	v_add_f32_e32 v31, v31, v32
	ds_bpermute_b32 v32, v30, v31
	s_and_saveexec_b32 s0, vcc_lo
	s_cbranch_execz .LBB24_4
; %bb.3:
	s_waitcnt lgkmcnt(0)
	v_add_f32_e32 v31, v31, v32
	ds_store_b32 v29, v31
.LBB24_4:
	s_or_b32 exec_lo, exec_lo, s0
	ds_bpermute_b32 v31, v26, v24
	s_waitcnt lgkmcnt(0)
	v_add_f32_e32 v24, v24, v31
	ds_bpermute_b32 v31, v27, v24
	s_waitcnt lgkmcnt(0)
	v_add_f32_e32 v24, v24, v31
	ds_bpermute_b32 v31, v25, v24
	s_waitcnt lgkmcnt(0)
	v_add_f32_e32 v24, v24, v31
	ds_bpermute_b32 v31, v28, v24
	s_waitcnt lgkmcnt(0)
	v_add_f32_e32 v24, v24, v31
	ds_bpermute_b32 v31, v30, v24
	s_and_saveexec_b32 s0, vcc_lo
	s_cbranch_execz .LBB24_6
; %bb.5:
	s_waitcnt lgkmcnt(0)
	v_add_f32_e32 v24, v24, v31
	ds_store_b32 v29, v24 offset:16
.LBB24_6:
	s_or_b32 exec_lo, exec_lo, s0
	ds_bpermute_b32 v24, v26, v23
	s_waitcnt lgkmcnt(0)
	v_add_f32_e32 v23, v23, v24
	ds_bpermute_b32 v24, v27, v23
	s_waitcnt lgkmcnt(0)
	v_add_f32_e32 v23, v23, v24
	ds_bpermute_b32 v24, v25, v23
	s_waitcnt lgkmcnt(0)
	v_add_f32_e32 v23, v23, v24
	ds_bpermute_b32 v24, v28, v23
	s_waitcnt lgkmcnt(0)
	v_add_f32_e32 v23, v23, v24
	ds_bpermute_b32 v24, v30, v23
	s_and_saveexec_b32 s0, vcc_lo
	s_cbranch_execz .LBB24_8
; %bb.7:
	s_waitcnt lgkmcnt(0)
	v_add_f32_e32 v23, v23, v24
	ds_store_b32 v29, v23 offset:32
.LBB24_8:
	;; [unrolled: 21-line block ×24, first 2 shown]
	s_or_b32 exec_lo, exec_lo, s0
	s_waitcnt lgkmcnt(0)
	s_barrier
	buffer_gl0_inv
	s_mov_b32 s0, exec_lo
	v_cmpx_eq_u32_e32 0, v0
	s_cbranch_execz .LBB24_54
; %bb.53:
	v_mov_b32_e32 v44, 0
	s_ashr_i32 s3, s2, 31
	ds_load_b128 v[0:3], v44
	ds_load_b128 v[4:7], v44 offset:16
	ds_load_b128 v[8:11], v44 offset:32
	;; [unrolled: 1-line block ×7, first 2 shown]
	s_lshl_b64 s[0:1], s[2:3], 2
	s_delay_alu instid0(SALU_CYCLE_1)
	s_add_u32 s0, s4, s0
	s_addc_u32 s1, s5, s1
	s_waitcnt lgkmcnt(4)
	v_add_f32_e32 v12, 0, v12
	v_add_f32_e32 v0, 0, v0
	s_waitcnt lgkmcnt(2)
	v_add_f32_e32 v20, 0, v20
	v_add_f32_e32 v4, 0, v4
	;; [unrolled: 3-line block ×3, first 2 shown]
	s_delay_alu instid0(VALU_DEP_3)
	v_add_f32_e32 v1, v4, v5
	ds_load_b128 v[32:35], v44 offset:128
	ds_load_b128 v[36:39], v44 offset:144
	v_dual_add_f32 v8, 0, v8 :: v_dual_add_f32 v5, v12, v13
	v_add_f32_e32 v0, v0, v2
	v_add_f32_e32 v1, v1, v6
	ds_load_b128 v[40:43], v44 offset:160
	v_add_f32_e32 v4, v8, v9
	v_add_f32_e32 v12, v24, v25
	s_waitcnt lgkmcnt(3)
	v_add_f32_e32 v28, 0, v28
	v_add_f32_e32 v16, 0, v16
	v_add_f32_e32 v2, v4, v10
	v_add_f32_e32 v4, v5, v14
	s_delay_alu instid0(VALU_DEP_2) | instskip(NEXT) | instid1(VALU_DEP_2)
	v_add_f32_e32 v24, v2, v11
	v_add_f32_e32 v25, v4, v15
	;; [unrolled: 1-line block ×7, first 2 shown]
	s_waitcnt lgkmcnt(2)
	v_dual_add_f32 v20, v0, v3 :: v_dual_add_f32 v3, 0, v32
	v_add_f32_e32 v26, v1, v27
	v_add_f32_e32 v4, v2, v30
	s_waitcnt lgkmcnt(1)
	v_dual_add_f32 v0, v9, v22 :: v_dual_add_f32 v9, 0, v36
	s_delay_alu instid0(VALU_DEP_2) | instskip(NEXT) | instid1(VALU_DEP_2)
	v_add_f32_e32 v27, v4, v31
	v_add_f32_e32 v23, v0, v23
	s_delay_alu instid0(VALU_DEP_3)
	v_add_f32_e32 v29, v9, v37
	v_mov_b32_e32 v37, 0x2000
	v_dual_add_f32 v5, v8, v18 :: v_dual_add_f32 v8, v3, v33
	ds_load_b128 v[0:3], v44 offset:176
	s_waitcnt lgkmcnt(1)
	v_dual_add_f32 v10, 0, v40 :: v_dual_add_f32 v45, v5, v19
	ds_load_b128 v[4:7], v44 offset:192
	v_add_f32_e32 v28, v8, v34
	v_add_f32_e32 v30, v10, v41
	ds_load_b128 v[8:11], v44 offset:208
	ds_load_b128 v[12:15], v44 offset:224
	;; [unrolled: 1-line block ×3, first 2 shown]
	s_waitcnt lgkmcnt(4)
	v_add_f32_e32 v0, 0, v0
	s_waitcnt lgkmcnt(3)
	v_add_f32_e32 v4, 0, v4
	s_delay_alu instid0(VALU_DEP_2) | instskip(SKIP_1) | instid1(VALU_DEP_2)
	v_add_f32_e32 v0, v0, v1
	s_waitcnt lgkmcnt(2)
	v_dual_add_f32 v1, v4, v5 :: v_dual_add_f32 v4, 0, v8
	s_waitcnt lgkmcnt(1)
	v_dual_add_f32 v5, 0, v12 :: v_dual_mov_b32 v22, 0x1000
	v_add_f32_e32 v0, v0, v2
	s_delay_alu instid0(VALU_DEP_3) | instskip(SKIP_1) | instid1(VALU_DEP_3)
	v_dual_add_f32 v1, v1, v6 :: v_dual_add_f32 v4, v4, v9
	s_waitcnt lgkmcnt(0)
	v_dual_add_f32 v5, v5, v13 :: v_dual_add_f32 v2, 0, v16
	s_delay_alu instid0(VALU_DEP_3) | instskip(NEXT) | instid1(VALU_DEP_3)
	v_add_f32_e32 v40, v0, v3
	v_add_f32_e32 v41, v1, v7
	v_add_f32_e32 v1, v4, v10
	s_clause 0x7
	global_store_b32 v44, v20, s[0:1]
	global_store_b32 v44, v21, s[0:1] offset:1024
	global_store_b32 v44, v24, s[0:1] offset:2048
	;; [unrolled: 1-line block ×3, first 2 shown]
	global_store_b32 v22, v45, s[0:1]
	global_store_b32 v22, v23, s[0:1] offset:1024
	global_store_b32 v22, v26, s[0:1] offset:2048
	;; [unrolled: 1-line block ×3, first 2 shown]
	ds_load_b128 v[20:23], v44 offset:256
	v_add_f32_e32 v24, v29, v38
	v_dual_add_f32 v25, v30, v42 :: v_dual_add_f32 v42, v1, v11
	v_add_f32_e32 v0, v2, v17
	v_add_f32_e32 v2, v5, v14
	s_delay_alu instid0(VALU_DEP_4) | instskip(NEXT) | instid1(VALU_DEP_3)
	v_add_f32_e32 v38, v24, v39
	v_dual_add_f32 v39, v25, v43 :: v_dual_add_f32 v0, v0, v18
	s_delay_alu instid0(VALU_DEP_3) | instskip(SKIP_2) | instid1(VALU_DEP_1)
	v_add_f32_e32 v43, v2, v15
	s_waitcnt lgkmcnt(0)
	v_dual_add_f32 v3, 0, v20 :: v_dual_mov_b32 v20, 0x3000
	v_dual_add_f32 v1, v3, v21 :: v_dual_add_f32 v36, v28, v35
	ds_load_b128 v[24:27], v44 offset:272
	ds_load_b128 v[28:31], v44 offset:288
	;; [unrolled: 1-line block ×3, first 2 shown]
	v_dual_add_f32 v21, v0, v19 :: v_dual_add_f32 v22, v1, v22
	ds_load_b128 v[0:3], v44 offset:320
	s_waitcnt lgkmcnt(3)
	v_add_f32_e32 v4, 0, v24
	s_waitcnt lgkmcnt(2)
	v_add_f32_e32 v5, 0, v28
	;; [unrolled: 2-line block ×3, first 2 shown]
	v_add_f32_e32 v24, v4, v25
	s_delay_alu instid0(VALU_DEP_3) | instskip(NEXT) | instid1(VALU_DEP_3)
	v_add_f32_e32 v25, v5, v29
	v_add_f32_e32 v28, v6, v33
	ds_load_b128 v[4:7], v44 offset:336
	ds_load_b128 v[8:11], v44 offset:352
	;; [unrolled: 1-line block ×4, first 2 shown]
	s_waitcnt lgkmcnt(4)
	v_add_f32_e32 v0, 0, v0
	s_delay_alu instid0(VALU_DEP_1) | instskip(NEXT) | instid1(VALU_DEP_1)
	v_add_f32_e32 v0, v0, v1
	v_add_f32_e32 v0, v0, v2
	s_waitcnt lgkmcnt(3)
	s_delay_alu instid0(VALU_DEP_1)
	v_dual_add_f32 v0, v0, v3 :: v_dual_add_f32 v1, 0, v4
	s_waitcnt lgkmcnt(2)
	v_add_f32_e32 v4, 0, v8
	s_waitcnt lgkmcnt(1)
	v_add_f32_e32 v8, 0, v12
	s_waitcnt lgkmcnt(0)
	v_dual_add_f32 v12, 0, v16 :: v_dual_add_f32 v1, v1, v5
	v_add_f32_e32 v2, v4, v9
	s_delay_alu instid0(VALU_DEP_3) | instskip(NEXT) | instid1(VALU_DEP_3)
	v_add_f32_e32 v4, v8, v13
	v_add_f32_e32 v5, v12, v17
	s_delay_alu instid0(VALU_DEP_4) | instskip(NEXT) | instid1(VALU_DEP_4)
	v_add_f32_e32 v1, v1, v6
	v_add_f32_e32 v2, v2, v10
	s_delay_alu instid0(VALU_DEP_4) | instskip(NEXT) | instid1(VALU_DEP_4)
	v_add_f32_e32 v3, v4, v14
	v_dual_add_f32 v4, v5, v18 :: v_dual_mov_b32 v5, 0x5000
	s_clause 0x7
	global_store_b32 v37, v36, s[0:1]
	global_store_b32 v37, v38, s[0:1] offset:1024
	global_store_b32 v37, v39, s[0:1] offset:2048
	;; [unrolled: 1-line block ×3, first 2 shown]
	global_store_b32 v20, v41, s[0:1]
	global_store_b32 v20, v42, s[0:1] offset:1024
	global_store_b32 v20, v43, s[0:1] offset:2048
	;; [unrolled: 1-line block ×3, first 2 shown]
	v_dual_add_f32 v21, v24, v26 :: v_dual_add_f32 v20, v22, v23
	v_add_f32_e32 v22, v25, v30
	v_dual_add_f32 v23, v28, v34 :: v_dual_mov_b32 v24, 0x4000
	s_delay_alu instid0(VALU_DEP_3) | instskip(SKIP_1) | instid1(VALU_DEP_4)
	v_add_f32_e32 v21, v21, v27
	v_add_f32_e32 v1, v1, v7
	;; [unrolled: 1-line block ×3, first 2 shown]
	s_delay_alu instid0(VALU_DEP_4)
	v_add_f32_e32 v23, v23, v35
	v_add_f32_e32 v2, v2, v11
	v_add_f32_e32 v3, v3, v15
	v_add_f32_e32 v4, v4, v19
	v_mov_b32_e32 v6, 0x6000
	s_clause 0x8
	global_store_b32 v24, v20, s[0:1]
	global_store_b32 v24, v21, s[0:1] offset:1024
	global_store_b32 v24, v22, s[0:1] offset:2048
	;; [unrolled: 1-line block ×3, first 2 shown]
	global_store_b32 v5, v0, s[0:1]
	global_store_b32 v5, v1, s[0:1] offset:1024
	global_store_b32 v5, v2, s[0:1] offset:2048
	;; [unrolled: 1-line block ×3, first 2 shown]
	global_store_b32 v6, v4, s[0:1]
.LBB24_54:
	s_nop 0
	s_sendmsg sendmsg(MSG_DEALLOC_VGPRS)
	s_endpgm
	.section	.rodata,"a",@progbits
	.p2align	6, 0x0
	.amdhsa_kernel _Z23fp32_router_gemm_kernelIfLi128ELi25ELi256ELi3072EEvPfPKT_PKf
		.amdhsa_group_segment_fixed_size 400
		.amdhsa_private_segment_fixed_size 0
		.amdhsa_kernarg_size 24
		.amdhsa_user_sgpr_count 15
		.amdhsa_user_sgpr_dispatch_ptr 0
		.amdhsa_user_sgpr_queue_ptr 0
		.amdhsa_user_sgpr_kernarg_segment_ptr 1
		.amdhsa_user_sgpr_dispatch_id 0
		.amdhsa_user_sgpr_private_segment_size 0
		.amdhsa_wavefront_size32 1
		.amdhsa_uses_dynamic_stack 0
		.amdhsa_enable_private_segment 0
		.amdhsa_system_sgpr_workgroup_id_x 1
		.amdhsa_system_sgpr_workgroup_id_y 0
		.amdhsa_system_sgpr_workgroup_id_z 0
		.amdhsa_system_sgpr_workgroup_info 0
		.amdhsa_system_vgpr_workitem_id 0
		.amdhsa_next_free_vgpr 92
		.amdhsa_next_free_sgpr 16
		.amdhsa_reserve_vcc 1
		.amdhsa_float_round_mode_32 0
		.amdhsa_float_round_mode_16_64 0
		.amdhsa_float_denorm_mode_32 3
		.amdhsa_float_denorm_mode_16_64 3
		.amdhsa_dx10_clamp 1
		.amdhsa_ieee_mode 1
		.amdhsa_fp16_overflow 0
		.amdhsa_workgroup_processor_mode 1
		.amdhsa_memory_ordered 1
		.amdhsa_forward_progress 0
		.amdhsa_shared_vgpr_count 0
		.amdhsa_exception_fp_ieee_invalid_op 0
		.amdhsa_exception_fp_denorm_src 0
		.amdhsa_exception_fp_ieee_div_zero 0
		.amdhsa_exception_fp_ieee_overflow 0
		.amdhsa_exception_fp_ieee_underflow 0
		.amdhsa_exception_fp_ieee_inexact 0
		.amdhsa_exception_int_div_zero 0
	.end_amdhsa_kernel
	.section	.text._Z23fp32_router_gemm_kernelIfLi128ELi25ELi256ELi3072EEvPfPKT_PKf,"axG",@progbits,_Z23fp32_router_gemm_kernelIfLi128ELi25ELi256ELi3072EEvPfPKT_PKf,comdat
.Lfunc_end24:
	.size	_Z23fp32_router_gemm_kernelIfLi128ELi25ELi256ELi3072EEvPfPKT_PKf, .Lfunc_end24-_Z23fp32_router_gemm_kernelIfLi128ELi25ELi256ELi3072EEvPfPKT_PKf
                                        ; -- End function
	.section	.AMDGPU.csdata,"",@progbits
; Kernel info:
; codeLenInByte = 5196
; NumSgprs: 18
; NumVgprs: 92
; ScratchSize: 0
; MemoryBound: 0
; FloatMode: 240
; IeeeMode: 1
; LDSByteSize: 400 bytes/workgroup (compile time only)
; SGPRBlocks: 2
; VGPRBlocks: 11
; NumSGPRsForWavesPerEU: 18
; NumVGPRsForWavesPerEU: 92
; Occupancy: 16
; WaveLimiterHint : 1
; COMPUTE_PGM_RSRC2:SCRATCH_EN: 0
; COMPUTE_PGM_RSRC2:USER_SGPR: 15
; COMPUTE_PGM_RSRC2:TRAP_HANDLER: 0
; COMPUTE_PGM_RSRC2:TGID_X_EN: 1
; COMPUTE_PGM_RSRC2:TGID_Y_EN: 0
; COMPUTE_PGM_RSRC2:TGID_Z_EN: 0
; COMPUTE_PGM_RSRC2:TIDIG_COMP_CNT: 0
	.section	.text._Z23fp32_router_gemm_kernelIfLi128ELi26ELi256ELi3072EEvPfPKT_PKf,"axG",@progbits,_Z23fp32_router_gemm_kernelIfLi128ELi26ELi256ELi3072EEvPfPKT_PKf,comdat
	.protected	_Z23fp32_router_gemm_kernelIfLi128ELi26ELi256ELi3072EEvPfPKT_PKf ; -- Begin function _Z23fp32_router_gemm_kernelIfLi128ELi26ELi256ELi3072EEvPfPKT_PKf
	.globl	_Z23fp32_router_gemm_kernelIfLi128ELi26ELi256ELi3072EEvPfPKT_PKf
	.p2align	8
	.type	_Z23fp32_router_gemm_kernelIfLi128ELi26ELi256ELi3072EEvPfPKT_PKf,@function
_Z23fp32_router_gemm_kernelIfLi128ELi26ELi256ELi3072EEvPfPKT_PKf: ; @_Z23fp32_router_gemm_kernelIfLi128ELi26ELi256ELi3072EEvPfPKT_PKf
; %bb.0:
	s_clause 0x1
	s_load_b128 s[4:7], s[0:1], 0x0
	s_load_b64 s[0:1], s[0:1], 0x10
	v_dual_mov_b32 v26, 0 :: v_dual_lshlrev_b32 v27, 2, v0
	s_mul_i32 s8, s15, 0xc00
	v_dual_mov_b32 v25, 0 :: v_dual_mov_b32 v24, 0
	s_ashr_i32 s9, s8, 31
	s_delay_alu instid0(VALU_DEP_2)
	v_or_b32_e32 v28, 0x200, v27
	v_or_b32_e32 v29, 0x400, v27
	;; [unrolled: 1-line block ×5, first 2 shown]
	s_lshl_b64 s[8:9], s[8:9], 2
	v_dual_mov_b32 v23, 0 :: v_dual_mov_b32 v22, 0
	v_dual_mov_b32 v21, 0 :: v_dual_mov_b32 v20, 0
	;; [unrolled: 1-line block ×11, first 2 shown]
	v_mov_b32_e32 v1, 0
	s_waitcnt lgkmcnt(0)
	s_add_u32 s0, s0, s8
	s_mov_b32 s2, s15
	s_addc_u32 s1, s1, s9
	s_mov_b64 s[8:9], 0
.LBB25_1:                               ; =>This Inner Loop Header: Depth=1
	s_delay_alu instid0(SALU_CYCLE_1)
	s_cmp_eq_u32 s8, 1
	s_cselect_b32 vcc_lo, -1, 0
	s_cmp_eq_u32 s8, 2
	v_cndmask_b32_e32 v33, v27, v28, vcc_lo
	s_cselect_b32 vcc_lo, -1, 0
	s_cmp_eq_u32 s8, 3
	s_delay_alu instid0(VALU_DEP_1) | instskip(SKIP_2) | instid1(VALU_DEP_1)
	v_cndmask_b32_e32 v33, v33, v29, vcc_lo
	s_cselect_b32 vcc_lo, -1, 0
	s_cmp_eq_u32 s8, 4
	v_cndmask_b32_e32 v33, v33, v30, vcc_lo
	s_cselect_b32 vcc_lo, -1, 0
	s_cmp_eq_u32 s8, 5
	s_delay_alu instid0(VALU_DEP_1)
	v_cndmask_b32_e32 v33, v33, v31, vcc_lo
	s_cselect_b32 vcc_lo, -1, 0
	s_add_u32 s8, s8, 1
	s_addc_u32 s9, s9, 0
	s_cmp_eq_u32 s8, 6
	v_cndmask_b32_e32 v33, v33, v32, vcc_lo
	s_delay_alu instid0(VALU_DEP_1) | instskip(NEXT) | instid1(VALU_DEP_1)
	v_lshlrev_b32_e32 v37, 2, v33
	v_add_co_u32 v43, s3, s6, v37
	s_delay_alu instid0(VALU_DEP_1)
	v_add_co_ci_u32_e64 v44, null, s7, 0, s3
	s_clause 0x1
	global_load_b128 v[33:36], v37, s[0:1]
	global_load_b128 v[37:40], v37, s[6:7]
	v_add_co_u32 v41, vcc_lo, 0x3000, v43
	v_add_co_ci_u32_e32 v42, vcc_lo, 0, v44, vcc_lo
	v_add_co_u32 v45, vcc_lo, 0x6000, v43
	v_add_co_ci_u32_e32 v46, vcc_lo, 0, v44, vcc_lo
	;; [unrolled: 2-line block ×25, first 2 shown]
	global_load_b128 v[41:44], v[41:42], off
	s_waitcnt vmcnt(0)
	v_fmac_f32_e32 v25, v41, v33
	s_delay_alu instid0(VALU_DEP_1) | instskip(NEXT) | instid1(VALU_DEP_1)
	v_dual_fmac_f32 v26, v37, v33 :: v_dual_fmac_f32 v25, v42, v34
	v_fmac_f32_e32 v26, v38, v34
	s_delay_alu instid0(VALU_DEP_1) | instskip(NEXT) | instid1(VALU_DEP_1)
	v_fmac_f32_e32 v26, v39, v35
	v_fmac_f32_e32 v26, v40, v36
	s_clause 0x1
	global_load_b128 v[37:40], v[45:46], off
	global_load_b128 v[45:48], v[47:48], off
	s_waitcnt vmcnt(1)
	v_dual_fmac_f32 v25, v43, v35 :: v_dual_fmac_f32 v24, v37, v33
	s_delay_alu instid0(VALU_DEP_1) | instskip(SKIP_4) | instid1(VALU_DEP_1)
	v_fmac_f32_e32 v25, v44, v36
	s_clause 0x1
	global_load_b128 v[41:44], v[49:50], off
	global_load_b128 v[49:52], v[51:52], off
	v_fmac_f32_e32 v24, v38, v34
	v_fmac_f32_e32 v24, v39, v35
	s_delay_alu instid0(VALU_DEP_1)
	v_fmac_f32_e32 v24, v40, v36
	s_clause 0x1
	global_load_b128 v[37:40], v[53:54], off
	global_load_b128 v[53:56], v[55:56], off
	s_waitcnt vmcnt(3)
	v_fmac_f32_e32 v22, v41, v33
	s_delay_alu instid0(VALU_DEP_1) | instskip(NEXT) | instid1(VALU_DEP_1)
	v_dual_fmac_f32 v22, v42, v34 :: v_dual_fmac_f32 v23, v45, v33
	v_dual_fmac_f32 v22, v43, v35 :: v_dual_fmac_f32 v23, v46, v34
	s_waitcnt vmcnt(1)
	v_fmac_f32_e32 v20, v37, v33
	s_delay_alu instid0(VALU_DEP_2) | instskip(NEXT) | instid1(VALU_DEP_2)
	v_dual_fmac_f32 v22, v44, v36 :: v_dual_fmac_f32 v23, v47, v35
	v_dual_fmac_f32 v20, v38, v34 :: v_dual_fmac_f32 v21, v49, v33
	s_delay_alu instid0(VALU_DEP_2)
	v_fmac_f32_e32 v23, v48, v36
	s_clause 0x3
	global_load_b128 v[45:48], v[57:58], off
	global_load_b128 v[57:60], v[59:60], off
	;; [unrolled: 1-line block ×4, first 2 shown]
	v_dual_fmac_f32 v20, v39, v35 :: v_dual_fmac_f32 v21, v50, v34
	s_delay_alu instid0(VALU_DEP_1) | instskip(SKIP_1) | instid1(VALU_DEP_1)
	v_dual_fmac_f32 v20, v40, v36 :: v_dual_fmac_f32 v21, v51, v35
	s_waitcnt vmcnt(3)
	v_dual_fmac_f32 v18, v45, v33 :: v_dual_fmac_f32 v21, v52, v36
	s_clause 0x3
	global_load_b128 v[49:52], v[65:66], off
	global_load_b128 v[65:68], v[67:68], off
	;; [unrolled: 1-line block ×4, first 2 shown]
	s_waitcnt vmcnt(5)
	v_fmac_f32_e32 v16, v41, v33
	v_dual_fmac_f32 v18, v46, v34 :: v_dual_fmac_f32 v19, v53, v33
	s_delay_alu instid0(VALU_DEP_2) | instskip(NEXT) | instid1(VALU_DEP_2)
	v_fmac_f32_e32 v16, v42, v34
	v_dual_fmac_f32 v18, v47, v35 :: v_dual_fmac_f32 v19, v54, v34
	s_delay_alu instid0(VALU_DEP_2) | instskip(NEXT) | instid1(VALU_DEP_2)
	v_dual_fmac_f32 v17, v57, v33 :: v_dual_fmac_f32 v16, v43, v35
	v_dual_fmac_f32 v18, v48, v36 :: v_dual_fmac_f32 v19, v55, v35
	s_delay_alu instid0(VALU_DEP_2) | instskip(NEXT) | instid1(VALU_DEP_2)
	v_dual_fmac_f32 v17, v58, v34 :: v_dual_fmac_f32 v16, v44, v36
	v_fmac_f32_e32 v19, v56, v36
	s_clause 0x3
	global_load_b128 v[53:56], v[73:74], off
	global_load_b128 v[73:76], v[75:76], off
	;; [unrolled: 1-line block ×4, first 2 shown]
	s_waitcnt vmcnt(7)
	v_dual_fmac_f32 v17, v59, v35 :: v_dual_fmac_f32 v14, v49, v33
	v_fmac_f32_e32 v15, v61, v33
	s_waitcnt vmcnt(5)
	s_delay_alu instid0(VALU_DEP_2)
	v_dual_fmac_f32 v17, v60, v36 :: v_dual_fmac_f32 v12, v37, v33
	s_clause 0x1
	global_load_b128 v[57:60], v[81:82], off
	global_load_b128 v[81:84], v[83:84], off
	v_fmac_f32_e32 v14, v50, v34
	v_fmac_f32_e32 v15, v62, v34
	s_clause 0x1
	global_load_b128 v[41:44], v[85:86], off
	global_load_b128 v[85:88], v[87:88], off
	v_dual_fmac_f32 v13, v65, v33 :: v_dual_fmac_f32 v12, v38, v34
	s_delay_alu instid0(VALU_DEP_1) | instskip(NEXT) | instid1(VALU_DEP_2)
	v_dual_fmac_f32 v14, v51, v35 :: v_dual_fmac_f32 v13, v66, v34
	v_fmac_f32_e32 v12, v39, v35
	s_delay_alu instid0(VALU_DEP_2) | instskip(NEXT) | instid1(VALU_DEP_2)
	v_dual_fmac_f32 v14, v52, v36 :: v_dual_fmac_f32 v13, v67, v35
	v_fmac_f32_e32 v12, v40, v36
	s_waitcnt vmcnt(7)
	v_dual_fmac_f32 v10, v53, v33 :: v_dual_fmac_f32 v15, v63, v35
	s_waitcnt vmcnt(5)
	v_fmac_f32_e32 v8, v45, v33
	v_fmac_f32_e32 v11, v69, v33
	s_delay_alu instid0(VALU_DEP_3)
	v_dual_fmac_f32 v9, v73, v33 :: v_dual_fmac_f32 v10, v54, v34
	v_fmac_f32_e32 v15, v64, v36
	s_clause 0x1
	global_load_b128 v[61:64], v[89:90], off
	global_load_b128 v[89:92], v[91:92], off
	v_fmac_f32_e32 v11, v70, v34
	v_fmac_f32_e32 v8, v46, v34
	v_dual_fmac_f32 v9, v74, v34 :: v_dual_fmac_f32 v10, v55, v35
	v_fmac_f32_e32 v13, v68, v36
	s_delay_alu instid0(VALU_DEP_4) | instskip(NEXT) | instid1(VALU_DEP_4)
	v_fmac_f32_e32 v11, v71, v35
	v_fmac_f32_e32 v8, v47, v35
	s_delay_alu instid0(VALU_DEP_4) | instskip(NEXT) | instid1(VALU_DEP_3)
	v_dual_fmac_f32 v9, v75, v35 :: v_dual_fmac_f32 v10, v56, v36
	v_fmac_f32_e32 v11, v72, v36
	s_delay_alu instid0(VALU_DEP_3) | instskip(SKIP_1) | instid1(VALU_DEP_3)
	v_fmac_f32_e32 v8, v48, v36
	s_waitcnt vmcnt(5)
	v_dual_fmac_f32 v9, v76, v36 :: v_dual_fmac_f32 v6, v57, v33
	v_fmac_f32_e32 v7, v77, v33
	s_waitcnt vmcnt(3)
	v_fmac_f32_e32 v4, v41, v33
	s_delay_alu instid0(VALU_DEP_3) | instskip(NEXT) | instid1(VALU_DEP_3)
	v_dual_fmac_f32 v5, v81, v33 :: v_dual_fmac_f32 v6, v58, v34
	v_fmac_f32_e32 v7, v78, v34
	s_delay_alu instid0(VALU_DEP_3) | instskip(NEXT) | instid1(VALU_DEP_3)
	v_fmac_f32_e32 v4, v42, v34
	v_dual_fmac_f32 v5, v82, v34 :: v_dual_fmac_f32 v6, v59, v35
	s_delay_alu instid0(VALU_DEP_3) | instskip(NEXT) | instid1(VALU_DEP_3)
	v_fmac_f32_e32 v7, v79, v35
	v_fmac_f32_e32 v4, v43, v35
	s_delay_alu instid0(VALU_DEP_3) | instskip(NEXT) | instid1(VALU_DEP_3)
	v_dual_fmac_f32 v5, v83, v35 :: v_dual_fmac_f32 v6, v60, v36
	v_fmac_f32_e32 v7, v80, v36
	s_delay_alu instid0(VALU_DEP_3) | instskip(SKIP_1) | instid1(VALU_DEP_3)
	v_fmac_f32_e32 v4, v44, v36
	s_waitcnt vmcnt(1)
	v_dual_fmac_f32 v5, v84, v36 :: v_dual_fmac_f32 v2, v61, v33
	v_fmac_f32_e32 v3, v85, v33
	s_waitcnt vmcnt(0)
	s_delay_alu instid0(VALU_DEP_2) | instskip(NEXT) | instid1(VALU_DEP_2)
	v_dual_fmac_f32 v1, v89, v33 :: v_dual_fmac_f32 v2, v62, v34
	v_fmac_f32_e32 v3, v86, v34
	s_delay_alu instid0(VALU_DEP_2) | instskip(NEXT) | instid1(VALU_DEP_2)
	v_dual_fmac_f32 v1, v90, v34 :: v_dual_fmac_f32 v2, v63, v35
	v_fmac_f32_e32 v3, v87, v35
	;; [unrolled: 3-line block ×3, first 2 shown]
	s_delay_alu instid0(VALU_DEP_2)
	v_fmac_f32_e32 v1, v92, v36
	s_cbranch_scc0 .LBB25_1
; %bb.2:
	v_mbcnt_lo_u32_b32 v30, -1, 0
	v_lshrrev_b32_e32 v34, 5, v0
	s_delay_alu instid0(VALU_DEP_2) | instskip(SKIP_1) | instid1(VALU_DEP_2)
	v_xor_b32_e32 v27, 16, v30
	v_xor_b32_e32 v28, 8, v30
	v_cmp_gt_i32_e32 vcc_lo, 32, v27
	v_cndmask_b32_e32 v27, v30, v27, vcc_lo
	s_delay_alu instid0(VALU_DEP_3) | instskip(SKIP_1) | instid1(VALU_DEP_1)
	v_cmp_gt_i32_e32 vcc_lo, 32, v28
	v_cndmask_b32_e32 v28, v30, v28, vcc_lo
	v_lshlrev_b32_e32 v28, 2, v28
	s_delay_alu instid0(VALU_DEP_4) | instskip(SKIP_4) | instid1(VALU_DEP_1)
	v_lshlrev_b32_e32 v27, 2, v27
	ds_bpermute_b32 v29, v27, v26
	s_waitcnt lgkmcnt(0)
	v_add_f32_e32 v29, v26, v29
	v_xor_b32_e32 v26, 4, v30
	v_cmp_gt_i32_e32 vcc_lo, 32, v26
	v_cndmask_b32_e32 v26, v30, v26, vcc_lo
	s_delay_alu instid0(VALU_DEP_1)
	v_lshlrev_b32_e32 v26, 2, v26
	ds_bpermute_b32 v31, v28, v29
	s_waitcnt lgkmcnt(0)
	v_add_f32_e32 v31, v29, v31
	v_xor_b32_e32 v29, 2, v30
	ds_bpermute_b32 v32, v26, v31
	v_cmp_gt_i32_e32 vcc_lo, 32, v29
	s_waitcnt lgkmcnt(0)
	v_dual_cndmask_b32 v29, v30, v29 :: v_dual_add_f32 v32, v31, v32
	v_xor_b32_e32 v31, 1, v30
	s_delay_alu instid0(VALU_DEP_1) | instskip(NEXT) | instid1(VALU_DEP_3)
	v_cmp_gt_i32_e32 vcc_lo, 32, v31
	v_dual_cndmask_b32 v30, v30, v31 :: v_dual_lshlrev_b32 v29, 2, v29
	ds_bpermute_b32 v33, v29, v32
	v_lshlrev_b32_e32 v31, 2, v30
	v_and_b32_e32 v30, 31, v0
	s_delay_alu instid0(VALU_DEP_1)
	v_cmp_eq_u32_e32 vcc_lo, 0, v30
	v_lshlrev_b32_e32 v30, 2, v34
	s_waitcnt lgkmcnt(0)
	v_add_f32_e32 v32, v32, v33
	ds_bpermute_b32 v33, v31, v32
	s_and_saveexec_b32 s0, vcc_lo
	s_cbranch_execz .LBB25_4
; %bb.3:
	s_waitcnt lgkmcnt(0)
	v_add_f32_e32 v32, v32, v33
	ds_store_b32 v30, v32
.LBB25_4:
	s_or_b32 exec_lo, exec_lo, s0
	ds_bpermute_b32 v32, v27, v25
	s_waitcnt lgkmcnt(0)
	v_add_f32_e32 v25, v25, v32
	ds_bpermute_b32 v32, v28, v25
	s_waitcnt lgkmcnt(0)
	v_add_f32_e32 v25, v25, v32
	ds_bpermute_b32 v32, v26, v25
	s_waitcnt lgkmcnt(0)
	v_add_f32_e32 v25, v25, v32
	ds_bpermute_b32 v32, v29, v25
	s_waitcnt lgkmcnt(0)
	v_add_f32_e32 v25, v25, v32
	ds_bpermute_b32 v32, v31, v25
	s_and_saveexec_b32 s0, vcc_lo
	s_cbranch_execz .LBB25_6
; %bb.5:
	s_waitcnt lgkmcnt(0)
	v_add_f32_e32 v25, v25, v32
	ds_store_b32 v30, v25 offset:16
.LBB25_6:
	s_or_b32 exec_lo, exec_lo, s0
	ds_bpermute_b32 v25, v27, v24
	s_waitcnt lgkmcnt(0)
	v_add_f32_e32 v24, v24, v25
	ds_bpermute_b32 v25, v28, v24
	s_waitcnt lgkmcnt(0)
	v_add_f32_e32 v24, v24, v25
	ds_bpermute_b32 v25, v26, v24
	s_waitcnt lgkmcnt(0)
	v_add_f32_e32 v24, v24, v25
	ds_bpermute_b32 v25, v29, v24
	s_waitcnt lgkmcnt(0)
	v_add_f32_e32 v24, v24, v25
	ds_bpermute_b32 v25, v31, v24
	s_and_saveexec_b32 s0, vcc_lo
	s_cbranch_execz .LBB25_8
; %bb.7:
	s_waitcnt lgkmcnt(0)
	v_add_f32_e32 v24, v24, v25
	ds_store_b32 v30, v24 offset:32
.LBB25_8:
	;; [unrolled: 21-line block ×25, first 2 shown]
	s_or_b32 exec_lo, exec_lo, s0
	s_waitcnt lgkmcnt(0)
	s_barrier
	buffer_gl0_inv
	s_mov_b32 s0, exec_lo
	v_cmpx_eq_u32_e32 0, v0
	s_cbranch_execz .LBB25_56
; %bb.55:
	v_mov_b32_e32 v40, 0
	s_ashr_i32 s3, s2, 31
	ds_load_b128 v[0:3], v40
	ds_load_b128 v[4:7], v40 offset:16
	ds_load_b128 v[8:11], v40 offset:32
	;; [unrolled: 1-line block ×7, first 2 shown]
	s_lshl_b64 s[0:1], s[2:3], 2
	s_delay_alu instid0(SALU_CYCLE_1)
	s_add_u32 s0, s4, s0
	s_addc_u32 s1, s5, s1
	s_waitcnt lgkmcnt(4)
	v_add_f32_e32 v12, 0, v12
	v_add_f32_e32 v0, 0, v0
	s_waitcnt lgkmcnt(2)
	v_add_f32_e32 v20, 0, v20
	v_add_f32_e32 v4, 0, v4
	;; [unrolled: 3-line block ×3, first 2 shown]
	v_add_f32_e32 v0, v0, v1
	v_add_f32_e32 v1, v4, v5
	ds_load_b128 v[32:35], v40 offset:128
	ds_load_b128 v[36:39], v40 offset:144
	v_dual_add_f32 v5, v12, v13 :: v_dual_add_f32 v8, 0, v8
	s_delay_alu instid0(VALU_DEP_1) | instskip(NEXT) | instid1(VALU_DEP_1)
	v_dual_add_f32 v5, v5, v14 :: v_dual_add_f32 v4, v8, v9
	v_dual_add_f32 v42, v5, v15 :: v_dual_add_f32 v5, v28, v29
	s_waitcnt lgkmcnt(0)
	v_dual_add_f32 v12, v24, v25 :: v_dual_add_f32 v13, 0, v36
	s_delay_alu instid0(VALU_DEP_3) | instskip(NEXT) | instid1(VALU_DEP_1)
	v_add_f32_e32 v4, v4, v10
	v_dual_add_f32 v16, 0, v16 :: v_dual_add_f32 v41, v4, v11
	s_delay_alu instid0(VALU_DEP_1) | instskip(NEXT) | instid1(VALU_DEP_1)
	v_add_f32_e32 v8, v16, v17
	v_add_f32_e32 v8, v8, v18
	s_delay_alu instid0(VALU_DEP_1) | instskip(SKIP_1) | instid1(VALU_DEP_2)
	v_dual_add_f32 v43, v8, v19 :: v_dual_add_f32 v8, v5, v30
	v_dual_add_f32 v6, v1, v6 :: v_dual_add_f32 v9, v20, v21
	v_add_f32_e32 v29, v8, v31
	s_delay_alu instid0(VALU_DEP_2) | instskip(SKIP_4) | instid1(VALU_DEP_4)
	v_add_f32_e32 v25, v6, v7
	v_dual_add_f32 v7, 0, v32 :: v_dual_add_f32 v0, v0, v2
	v_add_f32_e32 v31, v13, v37
	v_add_f32_e32 v4, v9, v22
	;; [unrolled: 1-line block ×5, first 2 shown]
	ds_load_b128 v[0:3], v40 offset:160
	v_add_f32_e32 v28, v4, v23
	v_add_f32_e32 v27, v6, v27
	ds_load_b128 v[4:7], v40 offset:176
	ds_load_b128 v[8:11], v40 offset:192
	v_add_f32_e32 v30, v12, v34
	ds_load_b128 v[12:15], v40 offset:208
	ds_load_b128 v[16:19], v40 offset:224
	;; [unrolled: 1-line block ×3, first 2 shown]
	s_waitcnt lgkmcnt(5)
	v_dual_mov_b32 v33, 0x2000 :: v_dual_add_f32 v0, 0, v0
	s_waitcnt lgkmcnt(4)
	s_delay_alu instid0(VALU_DEP_1) | instskip(SKIP_2) | instid1(VALU_DEP_2)
	v_dual_add_f32 v0, v0, v1 :: v_dual_add_f32 v1, 0, v4
	s_waitcnt lgkmcnt(3)
	v_add_f32_e32 v4, 0, v8
	v_dual_add_f32 v0, v0, v2 :: v_dual_add_f32 v1, v1, v5
	s_delay_alu instid0(VALU_DEP_2) | instskip(SKIP_2) | instid1(VALU_DEP_3)
	v_add_f32_e32 v2, v4, v9
	s_waitcnt lgkmcnt(2)
	v_add_f32_e32 v4, 0, v12
	v_add_f32_e32 v12, v0, v3
	s_waitcnt lgkmcnt(1)
	v_dual_add_f32 v0, 0, v16 :: v_dual_add_f32 v1, v1, v6
	s_waitcnt lgkmcnt(0)
	v_dual_add_f32 v3, v4, v13 :: v_dual_add_f32 v4, 0, v20
	v_mov_b32_e32 v26, 0x1000
	s_delay_alu instid0(VALU_DEP_3) | instskip(SKIP_1) | instid1(VALU_DEP_4)
	v_add_f32_e32 v0, v0, v17
	v_dual_add_f32 v2, v2, v10 :: v_dual_add_f32 v13, v1, v7
	v_dual_add_f32 v17, v4, v21 :: v_dual_add_f32 v14, v3, v14
	s_delay_alu instid0(VALU_DEP_3) | instskip(NEXT) | instid1(VALU_DEP_3)
	v_add_f32_e32 v18, v0, v18
	v_dual_add_f32 v16, v2, v11 :: v_dual_mov_b32 v21, 0x3000
	s_delay_alu instid0(VALU_DEP_3)
	v_add_f32_e32 v17, v17, v22
	s_clause 0x7
	global_store_b32 v40, v24, s[0:1]
	global_store_b32 v40, v25, s[0:1] offset:1024
	global_store_b32 v40, v41, s[0:1] offset:2048
	;; [unrolled: 1-line block ×3, first 2 shown]
	global_store_b32 v26, v43, s[0:1]
	global_store_b32 v26, v28, s[0:1] offset:1024
	global_store_b32 v26, v27, s[0:1] offset:2048
	;; [unrolled: 1-line block ×3, first 2 shown]
	v_add_f32_e32 v24, v31, v38
	v_add_f32_e32 v14, v14, v15
	;; [unrolled: 1-line block ×4, first 2 shown]
	s_delay_alu instid0(VALU_DEP_4)
	v_add_f32_e32 v34, v24, v39
	ds_load_b128 v[24:27], v40 offset:256
	ds_load_b128 v[0:3], v40 offset:272
	;; [unrolled: 1-line block ×4, first 2 shown]
	s_waitcnt lgkmcnt(2)
	v_add_f32_e32 v0, 0, v0
	s_waitcnt lgkmcnt(1)
	v_add_f32_e32 v4, 0, v4
	v_add_f32_e32 v20, 0, v24
	s_waitcnt lgkmcnt(0)
	v_add_f32_e32 v8, 0, v8
	v_add_f32_e32 v0, v0, v1
	v_dual_add_f32 v1, v4, v5 :: v_dual_add_f32 v32, v30, v35
	ds_load_b128 v[28:31], v40 offset:320
	v_add_f32_e32 v18, v20, v25
	v_dual_add_f32 v4, v8, v9 :: v_dual_add_f32 v1, v1, v6
	s_clause 0x7
	global_store_b32 v33, v32, s[0:1]
	global_store_b32 v33, v34, s[0:1] offset:1024
	global_store_b32 v33, v12, s[0:1] offset:2048
	;; [unrolled: 1-line block ×3, first 2 shown]
	global_store_b32 v21, v16, s[0:1]
	global_store_b32 v21, v14, s[0:1] offset:1024
	global_store_b32 v21, v15, s[0:1] offset:2048
	;; [unrolled: 1-line block ×3, first 2 shown]
	ds_load_b128 v[12:15], v40 offset:336
	v_add_f32_e32 v24, v18, v26
	ds_load_b128 v[16:19], v40 offset:352
	ds_load_b128 v[20:23], v40 offset:368
	;; [unrolled: 1-line block ×4, first 2 shown]
	v_add_f32_e32 v0, v0, v2
	v_dual_add_f32 v2, v4, v10 :: v_dual_add_f32 v1, v1, v7
	v_add_f32_e32 v8, v24, v27
	v_mov_b32_e32 v6, 0x5000
	s_delay_alu instid0(VALU_DEP_4) | instskip(SKIP_2) | instid1(VALU_DEP_1)
	v_add_f32_e32 v0, v0, v3
	s_waitcnt lgkmcnt(5)
	v_dual_add_f32 v2, v2, v11 :: v_dual_add_f32 v25, 0, v28
	v_add_f32_e32 v5, v25, v29
	s_waitcnt lgkmcnt(3)
	v_add_f32_e32 v7, 0, v16
	s_waitcnt lgkmcnt(2)
	;; [unrolled: 2-line block ×4, first 2 shown]
	v_dual_add_f32 v11, 0, v36 :: v_dual_add_f32 v4, v5, v30
	v_add_f32_e32 v7, v7, v17
	v_add_f32_e32 v9, v9, v21
	v_add_f32_e32 v10, v10, v33
	s_delay_alu instid0(VALU_DEP_4)
	v_add_f32_e32 v11, v11, v37
	v_dual_add_f32 v3, v4, v31 :: v_dual_add_f32 v4, 0, v12
	v_mov_b32_e32 v5, 0x4000
	v_add_f32_e32 v7, v7, v18
	v_add_f32_e32 v9, v9, v22
	;; [unrolled: 1-line block ×3, first 2 shown]
	v_dual_add_f32 v4, v4, v13 :: v_dual_add_f32 v11, v11, v38
	s_delay_alu instid0(VALU_DEP_4) | instskip(NEXT) | instid1(VALU_DEP_4)
	v_add_f32_e32 v7, v7, v19
	v_add_f32_e32 v9, v9, v23
	s_delay_alu instid0(VALU_DEP_4) | instskip(NEXT) | instid1(VALU_DEP_4)
	v_add_f32_e32 v10, v10, v35
	v_add_f32_e32 v4, v4, v14
	v_dual_mov_b32 v12, 0x6000 :: v_dual_add_f32 v11, v11, v39
	s_delay_alu instid0(VALU_DEP_2)
	v_add_f32_e32 v4, v4, v15
	s_clause 0x9
	global_store_b32 v5, v8, s[0:1]
	global_store_b32 v5, v0, s[0:1] offset:1024
	global_store_b32 v5, v1, s[0:1] offset:2048
	global_store_b32 v5, v2, s[0:1] offset:3072
	global_store_b32 v6, v3, s[0:1]
	global_store_b32 v6, v4, s[0:1] offset:1024
	global_store_b32 v6, v7, s[0:1] offset:2048
	;; [unrolled: 1-line block ×3, first 2 shown]
	global_store_b32 v12, v10, s[0:1]
	global_store_b32 v12, v11, s[0:1] offset:1024
.LBB25_56:
	s_nop 0
	s_sendmsg sendmsg(MSG_DEALLOC_VGPRS)
	s_endpgm
	.section	.rodata,"a",@progbits
	.p2align	6, 0x0
	.amdhsa_kernel _Z23fp32_router_gemm_kernelIfLi128ELi26ELi256ELi3072EEvPfPKT_PKf
		.amdhsa_group_segment_fixed_size 416
		.amdhsa_private_segment_fixed_size 0
		.amdhsa_kernarg_size 24
		.amdhsa_user_sgpr_count 15
		.amdhsa_user_sgpr_dispatch_ptr 0
		.amdhsa_user_sgpr_queue_ptr 0
		.amdhsa_user_sgpr_kernarg_segment_ptr 1
		.amdhsa_user_sgpr_dispatch_id 0
		.amdhsa_user_sgpr_private_segment_size 0
		.amdhsa_wavefront_size32 1
		.amdhsa_uses_dynamic_stack 0
		.amdhsa_enable_private_segment 0
		.amdhsa_system_sgpr_workgroup_id_x 1
		.amdhsa_system_sgpr_workgroup_id_y 0
		.amdhsa_system_sgpr_workgroup_id_z 0
		.amdhsa_system_sgpr_workgroup_info 0
		.amdhsa_system_vgpr_workitem_id 0
		.amdhsa_next_free_vgpr 93
		.amdhsa_next_free_sgpr 16
		.amdhsa_reserve_vcc 1
		.amdhsa_float_round_mode_32 0
		.amdhsa_float_round_mode_16_64 0
		.amdhsa_float_denorm_mode_32 3
		.amdhsa_float_denorm_mode_16_64 3
		.amdhsa_dx10_clamp 1
		.amdhsa_ieee_mode 1
		.amdhsa_fp16_overflow 0
		.amdhsa_workgroup_processor_mode 1
		.amdhsa_memory_ordered 1
		.amdhsa_forward_progress 0
		.amdhsa_shared_vgpr_count 0
		.amdhsa_exception_fp_ieee_invalid_op 0
		.amdhsa_exception_fp_denorm_src 0
		.amdhsa_exception_fp_ieee_div_zero 0
		.amdhsa_exception_fp_ieee_overflow 0
		.amdhsa_exception_fp_ieee_underflow 0
		.amdhsa_exception_fp_ieee_inexact 0
		.amdhsa_exception_int_div_zero 0
	.end_amdhsa_kernel
	.section	.text._Z23fp32_router_gemm_kernelIfLi128ELi26ELi256ELi3072EEvPfPKT_PKf,"axG",@progbits,_Z23fp32_router_gemm_kernelIfLi128ELi26ELi256ELi3072EEvPfPKT_PKf,comdat
.Lfunc_end25:
	.size	_Z23fp32_router_gemm_kernelIfLi128ELi26ELi256ELi3072EEvPfPKT_PKf, .Lfunc_end25-_Z23fp32_router_gemm_kernelIfLi128ELi26ELi256ELi3072EEvPfPKT_PKf
                                        ; -- End function
	.section	.AMDGPU.csdata,"",@progbits
; Kernel info:
; codeLenInByte = 5380
; NumSgprs: 18
; NumVgprs: 93
; ScratchSize: 0
; MemoryBound: 0
; FloatMode: 240
; IeeeMode: 1
; LDSByteSize: 416 bytes/workgroup (compile time only)
; SGPRBlocks: 2
; VGPRBlocks: 11
; NumSGPRsForWavesPerEU: 18
; NumVGPRsForWavesPerEU: 93
; Occupancy: 16
; WaveLimiterHint : 1
; COMPUTE_PGM_RSRC2:SCRATCH_EN: 0
; COMPUTE_PGM_RSRC2:USER_SGPR: 15
; COMPUTE_PGM_RSRC2:TRAP_HANDLER: 0
; COMPUTE_PGM_RSRC2:TGID_X_EN: 1
; COMPUTE_PGM_RSRC2:TGID_Y_EN: 0
; COMPUTE_PGM_RSRC2:TGID_Z_EN: 0
; COMPUTE_PGM_RSRC2:TIDIG_COMP_CNT: 0
	.section	.text._Z23fp32_router_gemm_kernelIfLi128ELi27ELi256ELi3072EEvPfPKT_PKf,"axG",@progbits,_Z23fp32_router_gemm_kernelIfLi128ELi27ELi256ELi3072EEvPfPKT_PKf,comdat
	.protected	_Z23fp32_router_gemm_kernelIfLi128ELi27ELi256ELi3072EEvPfPKT_PKf ; -- Begin function _Z23fp32_router_gemm_kernelIfLi128ELi27ELi256ELi3072EEvPfPKT_PKf
	.globl	_Z23fp32_router_gemm_kernelIfLi128ELi27ELi256ELi3072EEvPfPKT_PKf
	.p2align	8
	.type	_Z23fp32_router_gemm_kernelIfLi128ELi27ELi256ELi3072EEvPfPKT_PKf,@function
_Z23fp32_router_gemm_kernelIfLi128ELi27ELi256ELi3072EEvPfPKT_PKf: ; @_Z23fp32_router_gemm_kernelIfLi128ELi27ELi256ELi3072EEvPfPKT_PKf
; %bb.0:
	s_clause 0x1
	s_load_b128 s[4:7], s[0:1], 0x0
	s_load_b64 s[0:1], s[0:1], 0x10
	v_dual_mov_b32 v31, 0 :: v_dual_lshlrev_b32 v32, 2, v0
	s_mul_i32 s8, s15, 0xc00
	v_dual_mov_b32 v30, 0 :: v_dual_mov_b32 v29, 0
	s_ashr_i32 s9, s8, 31
	s_delay_alu instid0(VALU_DEP_2)
	v_or_b32_e32 v33, 0x200, v32
	v_or_b32_e32 v34, 0x400, v32
	;; [unrolled: 1-line block ×5, first 2 shown]
	s_lshl_b64 s[8:9], s[8:9], 2
	v_dual_mov_b32 v28, 0 :: v_dual_mov_b32 v27, 0
	v_dual_mov_b32 v26, 0 :: v_dual_mov_b32 v25, 0
	;; [unrolled: 1-line block ×12, first 2 shown]
	s_waitcnt lgkmcnt(0)
	s_add_u32 s0, s0, s8
	s_mov_b32 s2, s15
	s_addc_u32 s1, s1, s9
	s_mov_b64 s[8:9], 0
.LBB26_1:                               ; =>This Inner Loop Header: Depth=1
	s_delay_alu instid0(SALU_CYCLE_1)
	s_cmp_eq_u32 s8, 1
	s_cselect_b32 vcc_lo, -1, 0
	s_cmp_eq_u32 s8, 2
	v_cndmask_b32_e32 v1, v32, v33, vcc_lo
	s_cselect_b32 vcc_lo, -1, 0
	s_cmp_eq_u32 s8, 3
	s_delay_alu instid0(VALU_DEP_1) | instskip(SKIP_2) | instid1(VALU_DEP_1)
	v_cndmask_b32_e32 v1, v1, v34, vcc_lo
	s_cselect_b32 vcc_lo, -1, 0
	s_cmp_eq_u32 s8, 4
	v_cndmask_b32_e32 v1, v1, v35, vcc_lo
	s_cselect_b32 vcc_lo, -1, 0
	s_cmp_eq_u32 s8, 5
	s_delay_alu instid0(VALU_DEP_1)
	v_cndmask_b32_e32 v1, v1, v36, vcc_lo
	s_cselect_b32 vcc_lo, -1, 0
	s_add_u32 s8, s8, 1
	s_addc_u32 s9, s9, 0
	s_cmp_eq_u32 s8, 6
	v_cndmask_b32_e32 v1, v1, v37, vcc_lo
	s_delay_alu instid0(VALU_DEP_1)
	v_lshlrev_b32_e32 v42, 2, v1
	s_clause 0x1
	global_load_b128 v[1:4], v42, s[0:1]
	global_load_b128 v[38:41], v42, s[6:7]
	s_waitcnt vmcnt(0)
	v_fmac_f32_e32 v31, v38, v1
	s_delay_alu instid0(VALU_DEP_1) | instskip(SKIP_1) | instid1(VALU_DEP_1)
	v_fmac_f32_e32 v31, v39, v2
	v_add_co_u32 v92, s3, s6, v42
	v_add_co_ci_u32_e64 v93, null, s7, 0, s3
	s_delay_alu instid0(VALU_DEP_3) | instskip(NEXT) | instid1(VALU_DEP_3)
	v_fmac_f32_e32 v31, v40, v3
	v_add_co_u32 v42, vcc_lo, 0x3000, v92
	s_delay_alu instid0(VALU_DEP_3)
	v_add_co_ci_u32_e32 v43, vcc_lo, 0, v93, vcc_lo
	v_add_co_u32 v44, vcc_lo, 0x6000, v92
	v_add_co_ci_u32_e32 v45, vcc_lo, 0, v93, vcc_lo
	v_fmac_f32_e32 v31, v41, v4
	s_clause 0x1
	global_load_b128 v[38:41], v[42:43], off
	global_load_b128 v[42:45], v[44:45], off
	v_add_co_u32 v46, vcc_lo, 0x9000, v92
	v_add_co_ci_u32_e32 v47, vcc_lo, 0, v93, vcc_lo
	v_add_co_u32 v48, vcc_lo, 0xc000, v92
	v_add_co_ci_u32_e32 v49, vcc_lo, 0, v93, vcc_lo
	;; [unrolled: 2-line block ×24, first 2 shown]
	s_waitcnt vmcnt(1)
	v_fmac_f32_e32 v30, v38, v1
	s_delay_alu instid0(VALU_DEP_1) | instskip(NEXT) | instid1(VALU_DEP_1)
	v_fmac_f32_e32 v30, v39, v2
	v_fmac_f32_e32 v30, v40, v3
	s_delay_alu instid0(VALU_DEP_1) | instskip(SKIP_3) | instid1(VALU_DEP_1)
	v_fmac_f32_e32 v30, v41, v4
	global_load_b128 v[38:41], v[46:47], off
	s_waitcnt vmcnt(0)
	v_fmac_f32_e32 v28, v38, v1
	v_fmac_f32_e32 v28, v39, v2
	s_delay_alu instid0(VALU_DEP_1) | instskip(NEXT) | instid1(VALU_DEP_1)
	v_dual_fmac_f32 v28, v40, v3 :: v_dual_fmac_f32 v29, v42, v1
	v_dual_fmac_f32 v28, v41, v4 :: v_dual_fmac_f32 v29, v43, v2
	s_delay_alu instid0(VALU_DEP_1) | instskip(NEXT) | instid1(VALU_DEP_1)
	v_fmac_f32_e32 v29, v44, v3
	v_fmac_f32_e32 v29, v45, v4
	s_clause 0x3
	global_load_b128 v[42:45], v[48:49], off
	global_load_b128 v[46:49], v[50:51], off
	;; [unrolled: 1-line block ×4, first 2 shown]
	s_waitcnt vmcnt(2)
	v_fmac_f32_e32 v26, v46, v1
	s_waitcnt vmcnt(0)
	v_fmac_f32_e32 v24, v50, v1
	s_delay_alu instid0(VALU_DEP_2) | instskip(NEXT) | instid1(VALU_DEP_2)
	v_dual_fmac_f32 v27, v42, v1 :: v_dual_fmac_f32 v26, v47, v2
	v_fmac_f32_e32 v24, v51, v2
	s_delay_alu instid0(VALU_DEP_2) | instskip(NEXT) | instid1(VALU_DEP_2)
	v_dual_fmac_f32 v27, v43, v2 :: v_dual_fmac_f32 v26, v48, v3
	;; [unrolled: 3-line block ×3, first 2 shown]
	v_fmac_f32_e32 v24, v53, v4
	s_delay_alu instid0(VALU_DEP_2)
	v_fmac_f32_e32 v27, v45, v4
	s_clause 0x3
	global_load_b128 v[42:45], v[56:57], off
	global_load_b128 v[54:57], v[58:59], off
	;; [unrolled: 1-line block ×4, first 2 shown]
	s_waitcnt vmcnt(2)
	v_fmac_f32_e32 v22, v54, v1
	v_fmac_f32_e32 v25, v38, v1
	s_waitcnt vmcnt(0)
	v_fmac_f32_e32 v20, v58, v1
	s_delay_alu instid0(VALU_DEP_3) | instskip(NEXT) | instid1(VALU_DEP_3)
	v_dual_fmac_f32 v23, v42, v1 :: v_dual_fmac_f32 v22, v55, v2
	v_fmac_f32_e32 v25, v39, v2
	s_delay_alu instid0(VALU_DEP_3) | instskip(NEXT) | instid1(VALU_DEP_3)
	v_fmac_f32_e32 v20, v59, v2
	v_fmac_f32_e32 v23, v43, v2
	s_delay_alu instid0(VALU_DEP_4) | instskip(NEXT) | instid1(VALU_DEP_4)
	v_dual_fmac_f32 v21, v46, v1 :: v_dual_fmac_f32 v22, v56, v3
	v_fmac_f32_e32 v25, v40, v3
	s_delay_alu instid0(VALU_DEP_4) | instskip(NEXT) | instid1(VALU_DEP_3)
	v_fmac_f32_e32 v20, v60, v3
	v_dual_fmac_f32 v23, v44, v3 :: v_dual_fmac_f32 v22, v57, v4
	s_delay_alu instid0(VALU_DEP_3)
	v_fmac_f32_e32 v25, v41, v4
	s_clause 0x3
	global_load_b128 v[38:41], v[64:65], off
	global_load_b128 v[62:65], v[66:67], off
	;; [unrolled: 1-line block ×4, first 2 shown]
	v_fmac_f32_e32 v20, v61, v4
	v_fmac_f32_e32 v23, v45, v4
	s_clause 0x3
	global_load_b128 v[42:45], v[72:73], off
	global_load_b128 v[70:73], v[74:75], off
	;; [unrolled: 1-line block ×4, first 2 shown]
	s_waitcnt vmcnt(6)
	v_fmac_f32_e32 v18, v62, v1
	v_fmac_f32_e32 v19, v38, v1
	s_waitcnt vmcnt(4)
	v_fmac_f32_e32 v16, v66, v1
	v_fmac_f32_e32 v17, v50, v1
	;; [unrolled: 3-line block ×3, first 2 shown]
	v_fmac_f32_e32 v21, v47, v2
	s_waitcnt vmcnt(0)
	v_dual_fmac_f32 v19, v39, v2 :: v_dual_fmac_f32 v12, v74, v1
	v_dual_fmac_f32 v15, v42, v1 :: v_dual_fmac_f32 v14, v71, v2
	v_fmac_f32_e32 v18, v64, v3
	v_fmac_f32_e32 v21, v48, v3
	s_delay_alu instid0(VALU_DEP_4) | instskip(SKIP_1) | instid1(VALU_DEP_4)
	v_fmac_f32_e32 v19, v40, v3
	v_dual_fmac_f32 v13, v54, v1 :: v_dual_fmac_f32 v12, v75, v2
	v_fmac_f32_e32 v18, v65, v4
	s_delay_alu instid0(VALU_DEP_4)
	v_fmac_f32_e32 v21, v49, v4
	s_clause 0x3
	global_load_b128 v[46:49], v[80:81], off
	global_load_b128 v[78:81], v[82:83], off
	global_load_b128 v[58:61], v[84:85], off
	global_load_b128 v[82:85], v[86:87], off
	v_fmac_f32_e32 v19, v41, v4
	s_clause 0x2
	global_load_b128 v[38:41], v[88:89], off
	global_load_b128 v[86:89], v[90:91], off
	global_load_b128 v[62:65], v[92:93], off
	v_fmac_f32_e32 v16, v67, v2
	v_dual_fmac_f32 v13, v55, v2 :: v_dual_fmac_f32 v14, v72, v3
	v_fmac_f32_e32 v17, v51, v2
	s_delay_alu instid0(VALU_DEP_3) | instskip(SKIP_1) | instid1(VALU_DEP_4)
	v_dual_fmac_f32 v15, v43, v2 :: v_dual_fmac_f32 v16, v68, v3
	v_fmac_f32_e32 v12, v76, v3
	v_fmac_f32_e32 v13, v56, v3
	s_delay_alu instid0(VALU_DEP_4) | instskip(NEXT) | instid1(VALU_DEP_4)
	v_fmac_f32_e32 v17, v52, v3
	v_dual_fmac_f32 v15, v44, v3 :: v_dual_fmac_f32 v14, v73, v4
	v_fmac_f32_e32 v16, v69, v4
	v_fmac_f32_e32 v12, v77, v4
	s_delay_alu instid0(VALU_DEP_4)
	v_fmac_f32_e32 v17, v53, v4
	v_fmac_f32_e32 v13, v57, v4
	s_waitcnt vmcnt(5)
	v_dual_fmac_f32 v15, v45, v4 :: v_dual_fmac_f32 v10, v78, v1
	v_fmac_f32_e32 v11, v46, v1
	s_waitcnt vmcnt(3)
	v_fmac_f32_e32 v8, v82, v1
	v_fmac_f32_e32 v9, v58, v1
	s_waitcnt vmcnt(1)
	v_fmac_f32_e32 v6, v86, v1
	v_fmac_f32_e32 v7, v38, v1
	s_waitcnt vmcnt(0)
	v_dual_fmac_f32 v5, v62, v1 :: v_dual_fmac_f32 v10, v79, v2
	v_fmac_f32_e32 v11, v47, v2
	v_fmac_f32_e32 v8, v83, v2
	;; [unrolled: 1-line block ×4, first 2 shown]
	v_dual_fmac_f32 v10, v80, v3 :: v_dual_fmac_f32 v7, v39, v2
	s_delay_alu instid0(VALU_DEP_4) | instskip(NEXT) | instid1(VALU_DEP_3)
	v_dual_fmac_f32 v8, v84, v3 :: v_dual_fmac_f32 v5, v63, v2
	v_fmac_f32_e32 v6, v88, v3
	s_delay_alu instid0(VALU_DEP_3) | instskip(NEXT) | instid1(VALU_DEP_3)
	v_dual_fmac_f32 v11, v48, v3 :: v_dual_fmac_f32 v10, v81, v4
	v_dual_fmac_f32 v9, v60, v3 :: v_dual_fmac_f32 v8, v85, v4
	s_delay_alu instid0(VALU_DEP_3) | instskip(SKIP_1) | instid1(VALU_DEP_4)
	v_dual_fmac_f32 v7, v40, v3 :: v_dual_fmac_f32 v6, v89, v4
	v_fmac_f32_e32 v5, v64, v3
	v_fmac_f32_e32 v11, v49, v4
	s_delay_alu instid0(VALU_DEP_4) | instskip(NEXT) | instid1(VALU_DEP_4)
	v_fmac_f32_e32 v9, v61, v4
	v_fmac_f32_e32 v7, v41, v4
	s_delay_alu instid0(VALU_DEP_4)
	v_fmac_f32_e32 v5, v65, v4
	s_cbranch_scc0 .LBB26_1
; %bb.2:
	v_mbcnt_lo_u32_b32 v32, -1, 0
	v_lshrrev_b32_e32 v35, 5, v0
	s_delay_alu instid0(VALU_DEP_2) | instskip(SKIP_2) | instid1(VALU_DEP_3)
	v_xor_b32_e32 v1, 16, v32
	v_xor_b32_e32 v2, 8, v32
	;; [unrolled: 1-line block ×3, first 2 shown]
	v_cmp_gt_i32_e32 vcc_lo, 32, v1
	v_cndmask_b32_e32 v1, v32, v1, vcc_lo
	s_delay_alu instid0(VALU_DEP_4) | instskip(SKIP_1) | instid1(VALU_DEP_1)
	v_cmp_gt_i32_e32 vcc_lo, 32, v2
	v_cndmask_b32_e32 v2, v32, v2, vcc_lo
	v_lshlrev_b32_e32 v2, 2, v2
	s_delay_alu instid0(VALU_DEP_4)
	v_lshlrev_b32_e32 v1, 2, v1
	ds_bpermute_b32 v3, v1, v31
	s_waitcnt lgkmcnt(0)
	v_add_f32_e32 v4, v31, v3
	v_xor_b32_e32 v3, 4, v32
	ds_bpermute_b32 v31, v2, v4
	v_cmp_gt_i32_e32 vcc_lo, 32, v3
	v_cndmask_b32_e32 v3, v32, v3, vcc_lo
	s_waitcnt lgkmcnt(0)
	v_add_f32_e32 v31, v4, v31
	v_xor_b32_e32 v4, 2, v32
	s_delay_alu instid0(VALU_DEP_1) | instskip(SKIP_2) | instid1(VALU_DEP_2)
	v_cmp_gt_i32_e32 vcc_lo, 32, v4
	v_cndmask_b32_e32 v4, v32, v4, vcc_lo
	v_cmp_gt_i32_e32 vcc_lo, 32, v34
	v_lshlrev_b32_e32 v4, 2, v4
	v_dual_cndmask_b32 v32, v32, v34 :: v_dual_lshlrev_b32 v3, 2, v3
	s_delay_alu instid0(VALU_DEP_1)
	v_lshlrev_b32_e32 v32, 2, v32
	ds_bpermute_b32 v33, v3, v31
	s_waitcnt lgkmcnt(0)
	v_add_f32_e32 v31, v31, v33
	ds_bpermute_b32 v33, v4, v31
	s_waitcnt lgkmcnt(0)
	v_add_f32_e32 v33, v31, v33
	v_and_b32_e32 v31, 31, v0
	ds_bpermute_b32 v34, v32, v33
	v_cmp_eq_u32_e32 vcc_lo, 0, v31
	v_lshlrev_b32_e32 v31, 2, v35
	s_and_saveexec_b32 s0, vcc_lo
	s_cbranch_execz .LBB26_4
; %bb.3:
	s_waitcnt lgkmcnt(0)
	v_add_f32_e32 v33, v33, v34
	ds_store_b32 v31, v33
.LBB26_4:
	s_or_b32 exec_lo, exec_lo, s0
	ds_bpermute_b32 v33, v1, v30
	s_waitcnt lgkmcnt(0)
	v_add_f32_e32 v30, v30, v33
	ds_bpermute_b32 v33, v2, v30
	s_waitcnt lgkmcnt(0)
	v_add_f32_e32 v30, v30, v33
	ds_bpermute_b32 v33, v3, v30
	s_waitcnt lgkmcnt(0)
	v_add_f32_e32 v30, v30, v33
	ds_bpermute_b32 v33, v4, v30
	s_waitcnt lgkmcnt(0)
	v_add_f32_e32 v30, v30, v33
	ds_bpermute_b32 v33, v32, v30
	s_and_saveexec_b32 s0, vcc_lo
	s_cbranch_execz .LBB26_6
; %bb.5:
	s_waitcnt lgkmcnt(0)
	v_add_f32_e32 v30, v30, v33
	ds_store_b32 v31, v30 offset:16
.LBB26_6:
	s_or_b32 exec_lo, exec_lo, s0
	ds_bpermute_b32 v30, v1, v29
	s_waitcnt lgkmcnt(0)
	v_add_f32_e32 v29, v29, v30
	ds_bpermute_b32 v30, v2, v29
	s_waitcnt lgkmcnt(0)
	v_add_f32_e32 v29, v29, v30
	ds_bpermute_b32 v30, v3, v29
	s_waitcnt lgkmcnt(0)
	v_add_f32_e32 v29, v29, v30
	ds_bpermute_b32 v30, v4, v29
	s_waitcnt lgkmcnt(0)
	v_add_f32_e32 v29, v29, v30
	ds_bpermute_b32 v30, v32, v29
	s_and_saveexec_b32 s0, vcc_lo
	s_cbranch_execz .LBB26_8
; %bb.7:
	s_waitcnt lgkmcnt(0)
	v_add_f32_e32 v29, v29, v30
	ds_store_b32 v31, v29 offset:32
.LBB26_8:
	;; [unrolled: 21-line block ×26, first 2 shown]
	s_or_b32 exec_lo, exec_lo, s0
	s_waitcnt lgkmcnt(0)
	s_barrier
	buffer_gl0_inv
	s_mov_b32 s0, exec_lo
	v_cmpx_eq_u32_e32 0, v0
	s_cbranch_execz .LBB26_58
; %bb.57:
	v_mov_b32_e32 v36, 0
	s_ashr_i32 s3, s2, 31
	ds_load_b128 v[0:3], v36
	ds_load_b128 v[4:7], v36 offset:16
	ds_load_b128 v[8:11], v36 offset:32
	;; [unrolled: 1-line block ×7, first 2 shown]
	s_lshl_b64 s[0:1], s[2:3], 2
	v_mov_b32_e32 v41, 0x4000
	s_add_u32 s0, s4, s0
	s_addc_u32 s1, s5, s1
	s_waitcnt lgkmcnt(4)
	v_add_f32_e32 v12, 0, v12
	v_add_f32_e32 v0, 0, v0
	s_waitcnt lgkmcnt(2)
	v_add_f32_e32 v20, 0, v20
	v_add_f32_e32 v4, 0, v4
	v_add_f32_e32 v16, 0, v16
	s_waitcnt lgkmcnt(0)
	v_add_f32_e32 v28, 0, v28
	v_add_f32_e32 v8, 0, v8
	;; [unrolled: 1-line block ×4, first 2 shown]
	ds_load_b128 v[32:35], v36 offset:128
	v_add_f32_e32 v0, v0, v2
	v_add_f32_e32 v1, v1, v6
	;; [unrolled: 1-line block ×8, first 2 shown]
	s_delay_alu instid0(VALU_DEP_4) | instskip(SKIP_3) | instid1(VALU_DEP_4)
	v_dual_add_f32 v21, v1, v7 :: v_dual_add_f32 v2, v4, v10
	v_add_f32_e32 v4, v5, v14
	v_dual_add_f32 v5, v8, v18 :: v_dual_add_f32 v24, 0, v24
	v_add_f32_e32 v8, v9, v22
	v_add_f32_e32 v22, v2, v11
	ds_load_b128 v[0:3], v36 offset:144
	v_dual_add_f32 v11, v13, v30 :: v_dual_add_f32 v12, v24, v25
	v_add_f32_e32 v25, v5, v19
	v_add_f32_e32 v23, v8, v23
	;; [unrolled: 1-line block ×3, first 2 shown]
	ds_load_b128 v[4:7], v36 offset:160
	v_add_f32_e32 v28, v11, v31
	s_waitcnt lgkmcnt(1)
	v_add_f32_e32 v0, 0, v0
	s_delay_alu instid0(VALU_DEP_1) | instskip(SKIP_2) | instid1(VALU_DEP_2)
	v_add_f32_e32 v0, v0, v1
	s_waitcnt lgkmcnt(0)
	v_add_f32_e32 v4, 0, v4
	v_add_f32_e32 v0, v0, v2
	s_delay_alu instid0(VALU_DEP_2) | instskip(NEXT) | instid1(VALU_DEP_1)
	v_add_f32_e32 v1, v4, v5
	v_add_f32_e32 v1, v1, v6
	v_dual_add_f32 v9, v12, v26 :: v_dual_add_f32 v10, 0, v32
	s_delay_alu instid0(VALU_DEP_1)
	v_dual_add_f32 v27, v9, v27 :: v_dual_add_f32 v16, v10, v33
	ds_load_b128 v[8:11], v36 offset:176
	ds_load_b128 v[12:15], v36 offset:192
	v_mov_b32_e32 v33, 0x2000
	v_add_f32_e32 v29, v16, v34
	ds_load_b128 v[16:19], v36 offset:208
	v_add_f32_e32 v34, v0, v3
	v_add_f32_e32 v32, v29, v35
	s_waitcnt lgkmcnt(2)
	v_dual_add_f32 v35, v1, v7 :: v_dual_add_f32 v4, 0, v8
	s_waitcnt lgkmcnt(1)
	s_delay_alu instid0(VALU_DEP_1) | instskip(SKIP_1) | instid1(VALU_DEP_1)
	v_dual_add_f32 v5, 0, v12 :: v_dual_add_f32 v2, v4, v9
	s_waitcnt lgkmcnt(0)
	v_dual_add_f32 v4, v5, v13 :: v_dual_add_f32 v5, 0, v16
	v_mov_b32_e32 v26, 0x1000
	s_delay_alu instid0(VALU_DEP_3) | instskip(NEXT) | instid1(VALU_DEP_3)
	v_add_f32_e32 v8, v2, v10
	v_add_f32_e32 v9, v4, v14
	s_clause 0x7
	global_store_b32 v36, v20, s[0:1]
	global_store_b32 v36, v21, s[0:1] offset:1024
	global_store_b32 v36, v22, s[0:1] offset:2048
	;; [unrolled: 1-line block ×3, first 2 shown]
	global_store_b32 v26, v25, s[0:1]
	global_store_b32 v26, v23, s[0:1] offset:1024
	global_store_b32 v26, v27, s[0:1] offset:2048
	;; [unrolled: 1-line block ×3, first 2 shown]
	ds_load_b128 v[20:23], v36 offset:224
	ds_load_b128 v[24:27], v36 offset:240
	;; [unrolled: 1-line block ×3, first 2 shown]
	v_add_f32_e32 v10, v5, v17
	ds_load_b128 v[0:3], v36 offset:272
	ds_load_b128 v[4:7], v36 offset:288
	s_waitcnt lgkmcnt(3)
	v_add_f32_e32 v13, 0, v24
	s_waitcnt lgkmcnt(1)
	v_add_f32_e32 v0, 0, v0
	;; [unrolled: 2-line block ×3, first 2 shown]
	s_delay_alu instid0(VALU_DEP_2) | instskip(NEXT) | instid1(VALU_DEP_2)
	v_add_f32_e32 v0, v0, v1
	v_add_f32_e32 v1, v4, v5
	s_delay_alu instid0(VALU_DEP_2) | instskip(NEXT) | instid1(VALU_DEP_2)
	v_add_f32_e32 v0, v0, v2
	v_dual_add_f32 v1, v1, v6 :: v_dual_add_f32 v12, 0, v20
	v_dual_add_f32 v20, v8, v11 :: v_dual_add_f32 v11, 0, v28
	s_delay_alu instid0(VALU_DEP_3) | instskip(NEXT) | instid1(VALU_DEP_3)
	v_add_f32_e32 v0, v0, v3
	v_dual_add_f32 v1, v1, v7 :: v_dual_add_f32 v8, v12, v21
	v_add_f32_e32 v21, v9, v15
	v_dual_add_f32 v9, v10, v18 :: v_dual_add_f32 v10, v13, v25
	s_delay_alu instid0(VALU_DEP_3) | instskip(SKIP_1) | instid1(VALU_DEP_3)
	v_dual_add_f32 v17, v11, v29 :: v_dual_add_f32 v8, v8, v22
	v_mov_b32_e32 v22, 0x3000
	v_add_f32_e32 v24, v9, v19
	s_delay_alu instid0(VALU_DEP_4) | instskip(NEXT) | instid1(VALU_DEP_4)
	v_add_f32_e32 v16, v10, v26
	v_dual_add_f32 v26, v17, v30 :: v_dual_add_f32 v23, v8, v23
	ds_load_b128 v[8:11], v36 offset:304
	ds_load_b128 v[12:15], v36 offset:320
	v_dual_mov_b32 v6, 0x5000 :: v_dual_add_f32 v25, v16, v27
	ds_load_b128 v[16:19], v36 offset:336
	v_add_f32_e32 v40, v26, v31
	s_waitcnt lgkmcnt(2)
	v_add_f32_e32 v4, 0, v8
	s_waitcnt lgkmcnt(1)
	;; [unrolled: 2-line block ×3, first 2 shown]
	v_add_f32_e32 v8, 0, v16
	v_add_f32_e32 v4, v4, v9
	s_delay_alu instid0(VALU_DEP_3) | instskip(NEXT) | instid1(VALU_DEP_3)
	v_add_f32_e32 v5, v5, v13
	v_add_f32_e32 v2, v8, v17
	s_delay_alu instid0(VALU_DEP_3) | instskip(NEXT) | instid1(VALU_DEP_3)
	v_add_f32_e32 v4, v4, v10
	v_add_f32_e32 v5, v5, v14
	s_delay_alu instid0(VALU_DEP_2)
	v_dual_add_f32 v2, v2, v18 :: v_dual_add_f32 v3, v4, v11
	v_mov_b32_e32 v11, 0x6000
	s_clause 0x7
	global_store_b32 v33, v32, s[0:1]
	global_store_b32 v33, v34, s[0:1] offset:1024
	global_store_b32 v33, v35, s[0:1] offset:2048
	global_store_b32 v33, v20, s[0:1] offset:3072
	global_store_b32 v22, v21, s[0:1]
	global_store_b32 v22, v24, s[0:1] offset:1024
	global_store_b32 v22, v23, s[0:1] offset:2048
	;; [unrolled: 1-line block ×3, first 2 shown]
	ds_load_b128 v[20:23], v36 offset:352
	ds_load_b128 v[24:27], v36 offset:368
	ds_load_b128 v[28:31], v36 offset:384
	ds_load_b128 v[32:35], v36 offset:400
	ds_load_b128 v[36:39], v36 offset:416
	v_add_f32_e32 v4, v5, v15
	s_waitcnt lgkmcnt(4)
	v_dual_add_f32 v2, v2, v19 :: v_dual_add_f32 v5, 0, v20
	s_waitcnt lgkmcnt(3)
	v_add_f32_e32 v7, 0, v24
	s_waitcnt lgkmcnt(2)
	v_add_f32_e32 v8, 0, v28
	;; [unrolled: 2-line block ×3, first 2 shown]
	s_waitcnt lgkmcnt(0)
	v_dual_add_f32 v10, 0, v36 :: v_dual_add_f32 v5, v5, v21
	v_add_f32_e32 v7, v7, v25
	v_add_f32_e32 v8, v8, v29
	;; [unrolled: 1-line block ×3, first 2 shown]
	s_delay_alu instid0(VALU_DEP_4) | instskip(NEXT) | instid1(VALU_DEP_4)
	v_dual_add_f32 v10, v10, v37 :: v_dual_add_f32 v5, v5, v22
	v_add_f32_e32 v7, v7, v26
	s_delay_alu instid0(VALU_DEP_4) | instskip(NEXT) | instid1(VALU_DEP_4)
	v_add_f32_e32 v8, v8, v30
	v_add_f32_e32 v9, v9, v34
	s_delay_alu instid0(VALU_DEP_4) | instskip(NEXT) | instid1(VALU_DEP_4)
	v_dual_add_f32 v10, v10, v38 :: v_dual_add_f32 v5, v5, v23
	v_add_f32_e32 v7, v7, v27
	s_delay_alu instid0(VALU_DEP_4) | instskip(NEXT) | instid1(VALU_DEP_4)
	v_add_f32_e32 v8, v8, v31
	v_add_f32_e32 v9, v9, v35
	s_delay_alu instid0(VALU_DEP_4)
	v_add_f32_e32 v10, v10, v39
	s_clause 0xa
	global_store_b32 v41, v40, s[0:1]
	global_store_b32 v41, v0, s[0:1] offset:1024
	global_store_b32 v41, v1, s[0:1] offset:2048
	;; [unrolled: 1-line block ×3, first 2 shown]
	global_store_b32 v6, v4, s[0:1]
	global_store_b32 v6, v2, s[0:1] offset:1024
	global_store_b32 v6, v5, s[0:1] offset:2048
	;; [unrolled: 1-line block ×3, first 2 shown]
	global_store_b32 v11, v8, s[0:1]
	global_store_b32 v11, v9, s[0:1] offset:1024
	global_store_b32 v11, v10, s[0:1] offset:2048
.LBB26_58:
	s_nop 0
	s_sendmsg sendmsg(MSG_DEALLOC_VGPRS)
	s_endpgm
	.section	.rodata,"a",@progbits
	.p2align	6, 0x0
	.amdhsa_kernel _Z23fp32_router_gemm_kernelIfLi128ELi27ELi256ELi3072EEvPfPKT_PKf
		.amdhsa_group_segment_fixed_size 432
		.amdhsa_private_segment_fixed_size 0
		.amdhsa_kernarg_size 24
		.amdhsa_user_sgpr_count 15
		.amdhsa_user_sgpr_dispatch_ptr 0
		.amdhsa_user_sgpr_queue_ptr 0
		.amdhsa_user_sgpr_kernarg_segment_ptr 1
		.amdhsa_user_sgpr_dispatch_id 0
		.amdhsa_user_sgpr_private_segment_size 0
		.amdhsa_wavefront_size32 1
		.amdhsa_uses_dynamic_stack 0
		.amdhsa_enable_private_segment 0
		.amdhsa_system_sgpr_workgroup_id_x 1
		.amdhsa_system_sgpr_workgroup_id_y 0
		.amdhsa_system_sgpr_workgroup_id_z 0
		.amdhsa_system_sgpr_workgroup_info 0
		.amdhsa_system_vgpr_workitem_id 0
		.amdhsa_next_free_vgpr 94
		.amdhsa_next_free_sgpr 16
		.amdhsa_reserve_vcc 1
		.amdhsa_float_round_mode_32 0
		.amdhsa_float_round_mode_16_64 0
		.amdhsa_float_denorm_mode_32 3
		.amdhsa_float_denorm_mode_16_64 3
		.amdhsa_dx10_clamp 1
		.amdhsa_ieee_mode 1
		.amdhsa_fp16_overflow 0
		.amdhsa_workgroup_processor_mode 1
		.amdhsa_memory_ordered 1
		.amdhsa_forward_progress 0
		.amdhsa_shared_vgpr_count 0
		.amdhsa_exception_fp_ieee_invalid_op 0
		.amdhsa_exception_fp_denorm_src 0
		.amdhsa_exception_fp_ieee_div_zero 0
		.amdhsa_exception_fp_ieee_overflow 0
		.amdhsa_exception_fp_ieee_underflow 0
		.amdhsa_exception_fp_ieee_inexact 0
		.amdhsa_exception_int_div_zero 0
	.end_amdhsa_kernel
	.section	.text._Z23fp32_router_gemm_kernelIfLi128ELi27ELi256ELi3072EEvPfPKT_PKf,"axG",@progbits,_Z23fp32_router_gemm_kernelIfLi128ELi27ELi256ELi3072EEvPfPKT_PKf,comdat
.Lfunc_end26:
	.size	_Z23fp32_router_gemm_kernelIfLi128ELi27ELi256ELi3072EEvPfPKT_PKf, .Lfunc_end26-_Z23fp32_router_gemm_kernelIfLi128ELi27ELi256ELi3072EEvPfPKT_PKf
                                        ; -- End function
	.section	.AMDGPU.csdata,"",@progbits
; Kernel info:
; codeLenInByte = 5552
; NumSgprs: 18
; NumVgprs: 94
; ScratchSize: 0
; MemoryBound: 0
; FloatMode: 240
; IeeeMode: 1
; LDSByteSize: 432 bytes/workgroup (compile time only)
; SGPRBlocks: 2
; VGPRBlocks: 11
; NumSGPRsForWavesPerEU: 18
; NumVGPRsForWavesPerEU: 94
; Occupancy: 16
; WaveLimiterHint : 1
; COMPUTE_PGM_RSRC2:SCRATCH_EN: 0
; COMPUTE_PGM_RSRC2:USER_SGPR: 15
; COMPUTE_PGM_RSRC2:TRAP_HANDLER: 0
; COMPUTE_PGM_RSRC2:TGID_X_EN: 1
; COMPUTE_PGM_RSRC2:TGID_Y_EN: 0
; COMPUTE_PGM_RSRC2:TGID_Z_EN: 0
; COMPUTE_PGM_RSRC2:TIDIG_COMP_CNT: 0
	.section	.text._Z23fp32_router_gemm_kernelIfLi128ELi28ELi256ELi3072EEvPfPKT_PKf,"axG",@progbits,_Z23fp32_router_gemm_kernelIfLi128ELi28ELi256ELi3072EEvPfPKT_PKf,comdat
	.protected	_Z23fp32_router_gemm_kernelIfLi128ELi28ELi256ELi3072EEvPfPKT_PKf ; -- Begin function _Z23fp32_router_gemm_kernelIfLi128ELi28ELi256ELi3072EEvPfPKT_PKf
	.globl	_Z23fp32_router_gemm_kernelIfLi128ELi28ELi256ELi3072EEvPfPKT_PKf
	.p2align	8
	.type	_Z23fp32_router_gemm_kernelIfLi128ELi28ELi256ELi3072EEvPfPKT_PKf,@function
_Z23fp32_router_gemm_kernelIfLi128ELi28ELi256ELi3072EEvPfPKT_PKf: ; @_Z23fp32_router_gemm_kernelIfLi128ELi28ELi256ELi3072EEvPfPKT_PKf
; %bb.0:
	s_clause 0x1
	s_load_b128 s[4:7], s[0:1], 0x0
	s_load_b64 s[0:1], s[0:1], 0x10
	v_dual_mov_b32 v32, 0 :: v_dual_lshlrev_b32 v33, 2, v0
	s_mul_i32 s8, s15, 0xc00
	v_dual_mov_b32 v31, 0 :: v_dual_mov_b32 v30, 0
	s_ashr_i32 s9, s8, 31
	s_delay_alu instid0(VALU_DEP_2)
	v_or_b32_e32 v34, 0x200, v33
	v_or_b32_e32 v35, 0x400, v33
	;; [unrolled: 1-line block ×5, first 2 shown]
	s_lshl_b64 s[8:9], s[8:9], 2
	v_dual_mov_b32 v29, 0 :: v_dual_mov_b32 v28, 0
	v_dual_mov_b32 v27, 0 :: v_dual_mov_b32 v26, 0
	;; [unrolled: 1-line block ×12, first 2 shown]
	v_mov_b32_e32 v5, 0
	s_waitcnt lgkmcnt(0)
	s_add_u32 s0, s0, s8
	s_mov_b32 s2, s15
	s_addc_u32 s1, s1, s9
	s_mov_b64 s[8:9], 0
.LBB27_1:                               ; =>This Inner Loop Header: Depth=1
	s_delay_alu instid0(SALU_CYCLE_1)
	s_cmp_eq_u32 s8, 1
	s_cselect_b32 vcc_lo, -1, 0
	s_cmp_eq_u32 s8, 2
	v_cndmask_b32_e32 v1, v33, v34, vcc_lo
	s_cselect_b32 vcc_lo, -1, 0
	s_cmp_eq_u32 s8, 3
	s_delay_alu instid0(VALU_DEP_1) | instskip(SKIP_2) | instid1(VALU_DEP_1)
	v_cndmask_b32_e32 v1, v1, v35, vcc_lo
	s_cselect_b32 vcc_lo, -1, 0
	s_cmp_eq_u32 s8, 4
	v_cndmask_b32_e32 v1, v1, v36, vcc_lo
	s_cselect_b32 vcc_lo, -1, 0
	s_cmp_eq_u32 s8, 5
	s_delay_alu instid0(VALU_DEP_1)
	v_cndmask_b32_e32 v1, v1, v37, vcc_lo
	s_cselect_b32 vcc_lo, -1, 0
	s_add_u32 s8, s8, 1
	s_addc_u32 s9, s9, 0
	s_cmp_eq_u32 s8, 6
	v_cndmask_b32_e32 v1, v1, v38, vcc_lo
	s_delay_alu instid0(VALU_DEP_1)
	v_lshlrev_b32_e32 v43, 2, v1
	s_clause 0x1
	global_load_b128 v[1:4], v43, s[0:1]
	global_load_b128 v[39:42], v43, s[6:7]
	s_waitcnt vmcnt(0)
	v_fmac_f32_e32 v32, v39, v1
	s_delay_alu instid0(VALU_DEP_1) | instskip(NEXT) | instid1(VALU_DEP_1)
	v_fmac_f32_e32 v32, v40, v2
	v_fmac_f32_e32 v32, v41, v3
	v_add_co_u32 v95, s3, s6, v43
	s_delay_alu instid0(VALU_DEP_1) | instskip(NEXT) | instid1(VALU_DEP_3)
	v_add_co_ci_u32_e64 v96, null, s7, 0, s3
	v_fmac_f32_e32 v32, v42, v4
	s_delay_alu instid0(VALU_DEP_3) | instskip(NEXT) | instid1(VALU_DEP_3)
	v_add_co_u32 v43, vcc_lo, 0x3000, v95
	v_add_co_ci_u32_e32 v44, vcc_lo, 0, v96, vcc_lo
	v_add_co_u32 v45, vcc_lo, 0x6000, v95
	v_add_co_ci_u32_e32 v46, vcc_lo, 0, v96, vcc_lo
	s_clause 0x1
	global_load_b128 v[39:42], v[43:44], off
	global_load_b128 v[43:46], v[45:46], off
	v_add_co_u32 v47, vcc_lo, 0x9000, v95
	v_add_co_ci_u32_e32 v48, vcc_lo, 0, v96, vcc_lo
	v_add_co_u32 v49, vcc_lo, 0xc000, v95
	v_add_co_ci_u32_e32 v50, vcc_lo, 0, v96, vcc_lo
	;; [unrolled: 2-line block ×25, first 2 shown]
	s_waitcnt vmcnt(0)
	v_fmac_f32_e32 v30, v43, v1
	s_delay_alu instid0(VALU_DEP_1) | instskip(NEXT) | instid1(VALU_DEP_1)
	v_dual_fmac_f32 v30, v44, v2 :: v_dual_fmac_f32 v31, v39, v1
	v_dual_fmac_f32 v30, v45, v3 :: v_dual_fmac_f32 v31, v40, v2
	s_delay_alu instid0(VALU_DEP_1) | instskip(NEXT) | instid1(VALU_DEP_1)
	v_dual_fmac_f32 v30, v46, v4 :: v_dual_fmac_f32 v31, v41, v3
	v_fmac_f32_e32 v31, v42, v4
	s_clause 0x1
	global_load_b128 v[39:42], v[47:48], off
	global_load_b128 v[43:46], v[49:50], off
	s_waitcnt vmcnt(0)
	v_fmac_f32_e32 v28, v43, v1
	s_delay_alu instid0(VALU_DEP_1) | instskip(NEXT) | instid1(VALU_DEP_1)
	v_dual_fmac_f32 v28, v44, v2 :: v_dual_fmac_f32 v29, v39, v1
	v_dual_fmac_f32 v28, v45, v3 :: v_dual_fmac_f32 v29, v40, v2
	s_delay_alu instid0(VALU_DEP_1) | instskip(NEXT) | instid1(VALU_DEP_1)
	v_dual_fmac_f32 v28, v46, v4 :: v_dual_fmac_f32 v29, v41, v3
	v_fmac_f32_e32 v29, v42, v4
	s_clause 0x3
	global_load_b128 v[39:42], v[51:52], off
	global_load_b128 v[47:50], v[53:54], off
	;; [unrolled: 1-line block ×4, first 2 shown]
	s_waitcnt vmcnt(2)
	v_fmac_f32_e32 v26, v47, v1
	s_waitcnt vmcnt(0)
	v_fmac_f32_e32 v24, v51, v1
	s_delay_alu instid0(VALU_DEP_2) | instskip(NEXT) | instid1(VALU_DEP_2)
	v_dual_fmac_f32 v26, v48, v2 :: v_dual_fmac_f32 v27, v39, v1
	v_dual_fmac_f32 v24, v52, v2 :: v_dual_fmac_f32 v25, v43, v1
	s_delay_alu instid0(VALU_DEP_2) | instskip(NEXT) | instid1(VALU_DEP_2)
	v_dual_fmac_f32 v26, v49, v3 :: v_dual_fmac_f32 v27, v40, v2
	v_dual_fmac_f32 v24, v53, v3 :: v_dual_fmac_f32 v25, v44, v2
	s_delay_alu instid0(VALU_DEP_2) | instskip(NEXT) | instid1(VALU_DEP_2)
	v_dual_fmac_f32 v26, v50, v4 :: v_dual_fmac_f32 v27, v41, v3
	v_fmac_f32_e32 v24, v54, v4
	s_delay_alu instid0(VALU_DEP_2)
	v_fmac_f32_e32 v27, v42, v4
	s_clause 0x3
	global_load_b128 v[39:42], v[59:60], off
	global_load_b128 v[55:58], v[61:62], off
	;; [unrolled: 1-line block ×4, first 2 shown]
	s_waitcnt vmcnt(2)
	v_dual_fmac_f32 v25, v45, v3 :: v_dual_fmac_f32 v22, v55, v1
	s_delay_alu instid0(VALU_DEP_1)
	v_fmac_f32_e32 v25, v46, v4
	s_clause 0x3
	global_load_b128 v[43:46], v[67:68], off
	global_load_b128 v[63:66], v[69:70], off
	;; [unrolled: 1-line block ×4, first 2 shown]
	s_waitcnt vmcnt(4)
	v_fmac_f32_e32 v20, v59, v1
	v_dual_fmac_f32 v22, v56, v2 :: v_dual_fmac_f32 v23, v39, v1
	s_delay_alu instid0(VALU_DEP_2) | instskip(NEXT) | instid1(VALU_DEP_2)
	v_fmac_f32_e32 v20, v60, v2
	v_dual_fmac_f32 v22, v57, v3 :: v_dual_fmac_f32 v23, v40, v2
	s_delay_alu instid0(VALU_DEP_2) | instskip(NEXT) | instid1(VALU_DEP_2)
	v_dual_fmac_f32 v21, v47, v1 :: v_dual_fmac_f32 v20, v61, v3
	v_dual_fmac_f32 v22, v58, v4 :: v_dual_fmac_f32 v23, v41, v3
	s_delay_alu instid0(VALU_DEP_2) | instskip(NEXT) | instid1(VALU_DEP_2)
	v_dual_fmac_f32 v21, v48, v2 :: v_dual_fmac_f32 v20, v62, v4
	v_fmac_f32_e32 v23, v42, v4
	s_delay_alu instid0(VALU_DEP_2)
	v_fmac_f32_e32 v21, v49, v3
	s_clause 0x3
	global_load_b128 v[39:42], v[75:76], off
	global_load_b128 v[71:74], v[77:78], off
	;; [unrolled: 1-line block ×4, first 2 shown]
	s_waitcnt vmcnt(6)
	v_dual_fmac_f32 v18, v63, v1 :: v_dual_fmac_f32 v21, v50, v4
	s_clause 0x3
	global_load_b128 v[47:50], v[83:84], off
	global_load_b128 v[79:82], v[85:86], off
	;; [unrolled: 1-line block ×4, first 2 shown]
	s_waitcnt vmcnt(8)
	v_fmac_f32_e32 v16, v67, v1
	v_dual_fmac_f32 v18, v64, v2 :: v_dual_fmac_f32 v19, v43, v1
	s_delay_alu instid0(VALU_DEP_2) | instskip(NEXT) | instid1(VALU_DEP_2)
	v_dual_fmac_f32 v17, v51, v1 :: v_dual_fmac_f32 v16, v68, v2
	v_dual_fmac_f32 v18, v65, v3 :: v_dual_fmac_f32 v19, v44, v2
	s_delay_alu instid0(VALU_DEP_2) | instskip(NEXT) | instid1(VALU_DEP_2)
	v_dual_fmac_f32 v17, v52, v2 :: v_dual_fmac_f32 v16, v69, v3
	v_dual_fmac_f32 v18, v66, v4 :: v_dual_fmac_f32 v19, v45, v3
	s_delay_alu instid0(VALU_DEP_2) | instskip(SKIP_1) | instid1(VALU_DEP_2)
	v_dual_fmac_f32 v17, v53, v3 :: v_dual_fmac_f32 v16, v70, v4
	s_waitcnt vmcnt(6)
	v_dual_fmac_f32 v19, v46, v4 :: v_dual_fmac_f32 v14, v71, v1
	s_clause 0x2
	global_load_b128 v[43:46], v[91:92], off
	global_load_b128 v[87:90], v[93:94], off
	;; [unrolled: 1-line block ×3, first 2 shown]
	v_fmac_f32_e32 v15, v39, v1
	s_waitcnt vmcnt(7)
	v_fmac_f32_e32 v12, v75, v1
	v_dual_fmac_f32 v13, v55, v1 :: v_dual_fmac_f32 v14, v72, v2
	v_fmac_f32_e32 v17, v54, v4
	v_fmac_f32_e32 v15, v40, v2
	s_delay_alu instid0(VALU_DEP_4) | instskip(NEXT) | instid1(VALU_DEP_4)
	v_fmac_f32_e32 v12, v76, v2
	v_dual_fmac_f32 v13, v56, v2 :: v_dual_fmac_f32 v14, v73, v3
	s_delay_alu instid0(VALU_DEP_3) | instskip(NEXT) | instid1(VALU_DEP_3)
	v_fmac_f32_e32 v15, v41, v3
	v_fmac_f32_e32 v12, v77, v3
	s_delay_alu instid0(VALU_DEP_3) | instskip(NEXT) | instid1(VALU_DEP_3)
	v_dual_fmac_f32 v13, v57, v3 :: v_dual_fmac_f32 v14, v74, v4
	v_fmac_f32_e32 v15, v42, v4
	s_delay_alu instid0(VALU_DEP_3) | instskip(SKIP_1) | instid1(VALU_DEP_3)
	v_fmac_f32_e32 v12, v78, v4
	s_waitcnt vmcnt(5)
	v_dual_fmac_f32 v13, v58, v4 :: v_dual_fmac_f32 v10, v79, v1
	v_fmac_f32_e32 v11, v47, v1
	s_waitcnt vmcnt(3)
	v_fmac_f32_e32 v8, v83, v1
	s_delay_alu instid0(VALU_DEP_3) | instskip(NEXT) | instid1(VALU_DEP_3)
	v_dual_fmac_f32 v9, v59, v1 :: v_dual_fmac_f32 v10, v80, v2
	v_fmac_f32_e32 v11, v48, v2
	s_delay_alu instid0(VALU_DEP_3) | instskip(NEXT) | instid1(VALU_DEP_3)
	v_fmac_f32_e32 v8, v84, v2
	v_dual_fmac_f32 v9, v60, v2 :: v_dual_fmac_f32 v10, v81, v3
	s_delay_alu instid0(VALU_DEP_3) | instskip(NEXT) | instid1(VALU_DEP_3)
	v_fmac_f32_e32 v11, v49, v3
	v_fmac_f32_e32 v8, v85, v3
	s_delay_alu instid0(VALU_DEP_3) | instskip(NEXT) | instid1(VALU_DEP_3)
	v_dual_fmac_f32 v9, v61, v3 :: v_dual_fmac_f32 v10, v82, v4
	v_fmac_f32_e32 v11, v50, v4
	s_delay_alu instid0(VALU_DEP_3) | instskip(SKIP_1) | instid1(VALU_DEP_3)
	v_fmac_f32_e32 v8, v86, v4
	s_waitcnt vmcnt(1)
	v_dual_fmac_f32 v9, v62, v4 :: v_dual_fmac_f32 v6, v87, v1
	v_fmac_f32_e32 v7, v43, v1
	s_waitcnt vmcnt(0)
	s_delay_alu instid0(VALU_DEP_2) | instskip(NEXT) | instid1(VALU_DEP_2)
	v_dual_fmac_f32 v5, v63, v1 :: v_dual_fmac_f32 v6, v88, v2
	v_fmac_f32_e32 v7, v44, v2
	s_delay_alu instid0(VALU_DEP_2) | instskip(NEXT) | instid1(VALU_DEP_2)
	v_dual_fmac_f32 v5, v64, v2 :: v_dual_fmac_f32 v6, v89, v3
	v_fmac_f32_e32 v7, v45, v3
	;; [unrolled: 3-line block ×3, first 2 shown]
	s_delay_alu instid0(VALU_DEP_2)
	v_fmac_f32_e32 v5, v66, v4
	s_cbranch_scc0 .LBB27_1
; %bb.2:
	v_mbcnt_lo_u32_b32 v33, -1, 0
	v_lshrrev_b32_e32 v36, 5, v0
	s_delay_alu instid0(VALU_DEP_2) | instskip(SKIP_2) | instid1(VALU_DEP_3)
	v_xor_b32_e32 v1, 16, v33
	v_xor_b32_e32 v2, 8, v33
	;; [unrolled: 1-line block ×3, first 2 shown]
	v_cmp_gt_i32_e32 vcc_lo, 32, v1
	v_cndmask_b32_e32 v1, v33, v1, vcc_lo
	s_delay_alu instid0(VALU_DEP_4) | instskip(SKIP_1) | instid1(VALU_DEP_1)
	v_cmp_gt_i32_e32 vcc_lo, 32, v2
	v_cndmask_b32_e32 v2, v33, v2, vcc_lo
	v_lshlrev_b32_e32 v2, 2, v2
	s_delay_alu instid0(VALU_DEP_4)
	v_lshlrev_b32_e32 v1, 2, v1
	ds_bpermute_b32 v3, v1, v32
	s_waitcnt lgkmcnt(0)
	v_add_f32_e32 v4, v32, v3
	v_xor_b32_e32 v3, 4, v33
	ds_bpermute_b32 v32, v2, v4
	v_cmp_gt_i32_e32 vcc_lo, 32, v3
	s_waitcnt lgkmcnt(0)
	v_dual_cndmask_b32 v3, v33, v3 :: v_dual_add_f32 v32, v4, v32
	s_delay_alu instid0(VALU_DEP_1)
	v_lshlrev_b32_e32 v3, 2, v3
	v_xor_b32_e32 v4, 2, v33
	ds_bpermute_b32 v34, v3, v32
	v_cmp_gt_i32_e32 vcc_lo, 32, v4
	v_cndmask_b32_e32 v4, v33, v4, vcc_lo
	v_cmp_gt_i32_e32 vcc_lo, 32, v35
	v_cndmask_b32_e32 v33, v33, v35, vcc_lo
	s_delay_alu instid0(VALU_DEP_1) | instskip(NEXT) | instid1(VALU_DEP_4)
	v_lshlrev_b32_e32 v33, 2, v33
	v_lshlrev_b32_e32 v4, 2, v4
	s_waitcnt lgkmcnt(0)
	v_add_f32_e32 v32, v32, v34
	ds_bpermute_b32 v34, v4, v32
	s_waitcnt lgkmcnt(0)
	v_add_f32_e32 v34, v32, v34
	v_and_b32_e32 v32, 31, v0
	ds_bpermute_b32 v35, v33, v34
	v_cmp_eq_u32_e32 vcc_lo, 0, v32
	v_lshlrev_b32_e32 v32, 2, v36
	s_and_saveexec_b32 s0, vcc_lo
	s_cbranch_execz .LBB27_4
; %bb.3:
	s_waitcnt lgkmcnt(0)
	v_add_f32_e32 v34, v34, v35
	ds_store_b32 v32, v34
.LBB27_4:
	s_or_b32 exec_lo, exec_lo, s0
	ds_bpermute_b32 v34, v1, v31
	s_waitcnt lgkmcnt(0)
	v_add_f32_e32 v31, v31, v34
	ds_bpermute_b32 v34, v2, v31
	s_waitcnt lgkmcnt(0)
	v_add_f32_e32 v31, v31, v34
	ds_bpermute_b32 v34, v3, v31
	s_waitcnt lgkmcnt(0)
	v_add_f32_e32 v31, v31, v34
	ds_bpermute_b32 v34, v4, v31
	s_waitcnt lgkmcnt(0)
	v_add_f32_e32 v31, v31, v34
	ds_bpermute_b32 v34, v33, v31
	s_and_saveexec_b32 s0, vcc_lo
	s_cbranch_execz .LBB27_6
; %bb.5:
	s_waitcnt lgkmcnt(0)
	v_add_f32_e32 v31, v31, v34
	ds_store_b32 v32, v31 offset:16
.LBB27_6:
	s_or_b32 exec_lo, exec_lo, s0
	ds_bpermute_b32 v31, v1, v30
	s_waitcnt lgkmcnt(0)
	v_add_f32_e32 v30, v30, v31
	ds_bpermute_b32 v31, v2, v30
	s_waitcnt lgkmcnt(0)
	v_add_f32_e32 v30, v30, v31
	ds_bpermute_b32 v31, v3, v30
	s_waitcnt lgkmcnt(0)
	v_add_f32_e32 v30, v30, v31
	ds_bpermute_b32 v31, v4, v30
	s_waitcnt lgkmcnt(0)
	v_add_f32_e32 v30, v30, v31
	ds_bpermute_b32 v31, v33, v30
	s_and_saveexec_b32 s0, vcc_lo
	s_cbranch_execz .LBB27_8
; %bb.7:
	s_waitcnt lgkmcnt(0)
	v_add_f32_e32 v30, v30, v31
	ds_store_b32 v32, v30 offset:32
.LBB27_8:
	;; [unrolled: 21-line block ×27, first 2 shown]
	s_or_b32 exec_lo, exec_lo, s0
	s_waitcnt lgkmcnt(0)
	s_barrier
	buffer_gl0_inv
	s_mov_b32 s0, exec_lo
	v_cmpx_eq_u32_e32 0, v0
	s_cbranch_execz .LBB27_60
; %bb.59:
	v_mov_b32_e32 v44, 0
	s_ashr_i32 s3, s2, 31
	ds_load_b128 v[0:3], v44
	ds_load_b128 v[4:7], v44 offset:16
	ds_load_b128 v[8:11], v44 offset:32
	;; [unrolled: 1-line block ×7, first 2 shown]
	s_lshl_b64 s[0:1], s[2:3], 2
	s_delay_alu instid0(SALU_CYCLE_1)
	s_add_u32 s0, s4, s0
	s_addc_u32 s1, s5, s1
	s_waitcnt lgkmcnt(4)
	v_add_f32_e32 v12, 0, v12
	v_add_f32_e32 v0, 0, v0
	s_waitcnt lgkmcnt(2)
	v_add_f32_e32 v20, 0, v20
	v_add_f32_e32 v4, 0, v4
	;; [unrolled: 3-line block ×3, first 2 shown]
	s_delay_alu instid0(VALU_DEP_3)
	v_dual_add_f32 v1, v4, v5 :: v_dual_add_f32 v8, 0, v8
	ds_load_b128 v[32:35], v44 offset:128
	ds_load_b128 v[36:39], v44 offset:144
	v_add_f32_e32 v5, v12, v13
	ds_load_b128 v[40:43], v44 offset:160
	v_dual_add_f32 v1, v1, v6 :: v_dual_add_f32 v4, v8, v9
	v_add_f32_e32 v0, v0, v2
	v_add_f32_e32 v16, 0, v16
	;; [unrolled: 1-line block ×3, first 2 shown]
	s_delay_alu instid0(VALU_DEP_4) | instskip(SKIP_1) | instid1(VALU_DEP_2)
	v_add_f32_e32 v2, v4, v10
	v_add_f32_e32 v4, v5, v14
	;; [unrolled: 1-line block ×3, first 2 shown]
	s_delay_alu instid0(VALU_DEP_2) | instskip(SKIP_4) | instid1(VALU_DEP_3)
	v_add_f32_e32 v25, v4, v15
	s_waitcnt lgkmcnt(3)
	v_dual_add_f32 v9, v20, v21 :: v_dual_add_f32 v28, 0, v28
	v_add_f32_e32 v20, v0, v3
	v_dual_add_f32 v21, v1, v7 :: v_dual_add_f32 v8, v16, v17
	v_dual_add_f32 v1, v9, v22 :: v_dual_add_f32 v0, v28, v29
	v_add_f32_e32 v3, v12, v26
	s_waitcnt lgkmcnt(1)
	v_add_f32_e32 v29, 0, v36
	v_add_f32_e32 v5, v8, v18
	v_dual_add_f32 v23, v1, v23 :: v_dual_add_f32 v4, v0, v30
	v_add_f32_e32 v2, 0, v32
	v_add_f32_e32 v26, v3, v27
	s_delay_alu instid0(VALU_DEP_4) | instskip(NEXT) | instid1(VALU_DEP_3)
	v_add_f32_e32 v45, v5, v19
	v_dual_add_f32 v27, v4, v31 :: v_dual_add_f32 v8, v2, v33
	ds_load_b128 v[0:3], v44 offset:176
	ds_load_b128 v[4:7], v44 offset:192
	v_add_f32_e32 v28, v8, v34
	ds_load_b128 v[8:11], v44 offset:208
	ds_load_b128 v[12:15], v44 offset:224
	;; [unrolled: 1-line block ×3, first 2 shown]
	s_waitcnt lgkmcnt(4)
	v_add_f32_e32 v0, 0, v0
	s_waitcnt lgkmcnt(3)
	v_add_f32_e32 v4, 0, v4
	v_mov_b32_e32 v22, 0x1000
	s_delay_alu instid0(VALU_DEP_3) | instskip(SKIP_1) | instid1(VALU_DEP_3)
	v_add_f32_e32 v0, v0, v1
	s_waitcnt lgkmcnt(1)
	v_dual_add_f32 v1, v4, v5 :: v_dual_add_f32 v4, 0, v12
	s_waitcnt lgkmcnt(0)
	s_delay_alu instid0(VALU_DEP_2) | instskip(NEXT) | instid1(VALU_DEP_2)
	v_dual_add_f32 v5, 0, v16 :: v_dual_add_f32 v0, v0, v2
	v_dual_add_f32 v1, v1, v6 :: v_dual_add_f32 v2, 0, v8
	s_delay_alu instid0(VALU_DEP_2) | instskip(NEXT) | instid1(VALU_DEP_2)
	v_add_f32_e32 v32, v0, v3
	v_dual_add_f32 v33, v1, v7 :: v_dual_add_f32 v0, v2, v9
	v_add_f32_e32 v1, v4, v13
	v_add_f32_e32 v2, v5, v17
	s_delay_alu instid0(VALU_DEP_3) | instskip(NEXT) | instid1(VALU_DEP_3)
	v_add_f32_e32 v8, v0, v10
	v_dual_add_f32 v30, 0, v40 :: v_dual_add_f32 v9, v1, v14
	s_clause 0x7
	global_store_b32 v44, v20, s[0:1]
	global_store_b32 v44, v21, s[0:1] offset:1024
	global_store_b32 v44, v24, s[0:1] offset:2048
	;; [unrolled: 1-line block ×3, first 2 shown]
	global_store_b32 v22, v45, s[0:1]
	global_store_b32 v22, v23, s[0:1] offset:1024
	global_store_b32 v22, v26, s[0:1] offset:2048
	;; [unrolled: 1-line block ×3, first 2 shown]
	v_add_f32_e32 v24, v29, v37
	ds_load_b128 v[20:23], v44 offset:256
	v_add_f32_e32 v25, v30, v41
	v_dual_add_f32 v10, v2, v18 :: v_dual_mov_b32 v29, 0x2000
	v_dual_add_f32 v24, v24, v38 :: v_dual_mov_b32 v41, 0x4000
	s_delay_alu instid0(VALU_DEP_3) | instskip(NEXT) | instid1(VALU_DEP_3)
	v_add_f32_e32 v30, v25, v42
	v_add_f32_e32 v34, v10, v19
	s_delay_alu instid0(VALU_DEP_3) | instskip(SKIP_3) | instid1(VALU_DEP_1)
	v_add_f32_e32 v31, v24, v39
	ds_load_b128 v[24:27], v44 offset:272
	s_waitcnt lgkmcnt(1)
	v_dual_add_f32 v3, 0, v20 :: v_dual_mov_b32 v20, 0x3000
	v_add_f32_e32 v12, v3, v21
	ds_load_b128 v[0:3], v44 offset:288
	ds_load_b128 v[4:7], v44 offset:304
	v_add_f32_e32 v21, v8, v11
	s_waitcnt lgkmcnt(2)
	v_dual_add_f32 v13, 0, v24 :: v_dual_add_f32 v24, v9, v15
	s_delay_alu instid0(VALU_DEP_1)
	v_dual_add_f32 v22, v12, v22 :: v_dual_add_f32 v25, v13, v25
	ds_load_b128 v[8:11], v44 offset:320
	ds_load_b128 v[12:15], v44 offset:336
	;; [unrolled: 1-line block ×3, first 2 shown]
	v_add_f32_e32 v28, v28, v35
	v_add_f32_e32 v40, v22, v23
	s_waitcnt lgkmcnt(4)
	v_add_f32_e32 v0, 0, v0
	s_waitcnt lgkmcnt(3)
	v_add_f32_e32 v4, 0, v4
	s_delay_alu instid0(VALU_DEP_2) | instskip(SKIP_1) | instid1(VALU_DEP_2)
	v_add_f32_e32 v0, v0, v1
	s_waitcnt lgkmcnt(2)
	v_dual_add_f32 v1, v4, v5 :: v_dual_add_f32 v4, 0, v8
	s_waitcnt lgkmcnt(1)
	v_add_f32_e32 v5, 0, v12
	s_waitcnt lgkmcnt(0)
	v_add_f32_e32 v8, 0, v16
	v_add_f32_e32 v0, v0, v2
	v_dual_add_f32 v1, v1, v6 :: v_dual_add_f32 v4, v4, v9
	v_add_f32_e32 v2, v5, v13
	s_delay_alu instid0(VALU_DEP_4) | instskip(NEXT) | instid1(VALU_DEP_4)
	v_dual_add_f32 v5, v8, v17 :: v_dual_add_f32 v30, v30, v43
	v_add_f32_e32 v0, v0, v3
	s_delay_alu instid0(VALU_DEP_4) | instskip(NEXT) | instid1(VALU_DEP_3)
	v_dual_add_f32 v4, v4, v10 :: v_dual_add_f32 v1, v1, v7
	v_add_f32_e32 v3, v5, v18
	v_add_f32_e32 v2, v2, v14
	v_mov_b32_e32 v6, 0x5000
	s_delay_alu instid0(VALU_DEP_4)
	v_dual_add_f32 v4, v4, v11 :: v_dual_mov_b32 v11, 0x6000
	s_clause 0x7
	global_store_b32 v29, v28, s[0:1]
	global_store_b32 v29, v31, s[0:1] offset:1024
	global_store_b32 v29, v30, s[0:1] offset:2048
	;; [unrolled: 1-line block ×3, first 2 shown]
	global_store_b32 v20, v33, s[0:1]
	global_store_b32 v20, v21, s[0:1] offset:1024
	global_store_b32 v20, v24, s[0:1] offset:2048
	;; [unrolled: 1-line block ×3, first 2 shown]
	v_add_f32_e32 v20, v25, v26
	v_add_f32_e32 v2, v2, v15
	;; [unrolled: 1-line block ×3, first 2 shown]
	s_delay_alu instid0(VALU_DEP_3)
	v_add_f32_e32 v42, v20, v27
	ds_load_b128 v[20:23], v44 offset:368
	ds_load_b128 v[24:27], v44 offset:384
	;; [unrolled: 1-line block ×5, first 2 shown]
	s_waitcnt lgkmcnt(4)
	v_add_f32_e32 v5, 0, v20
	s_waitcnt lgkmcnt(3)
	v_add_f32_e32 v7, 0, v24
	;; [unrolled: 2-line block ×4, first 2 shown]
	s_waitcnt lgkmcnt(0)
	v_dual_add_f32 v10, 0, v36 :: v_dual_add_f32 v5, v5, v21
	v_add_f32_e32 v7, v7, v25
	v_add_f32_e32 v8, v8, v29
	;; [unrolled: 1-line block ×3, first 2 shown]
	s_delay_alu instid0(VALU_DEP_4) | instskip(NEXT) | instid1(VALU_DEP_4)
	v_dual_add_f32 v10, v10, v37 :: v_dual_add_f32 v5, v5, v22
	v_add_f32_e32 v7, v7, v26
	s_delay_alu instid0(VALU_DEP_4) | instskip(NEXT) | instid1(VALU_DEP_4)
	v_add_f32_e32 v8, v8, v30
	v_add_f32_e32 v9, v9, v34
	s_delay_alu instid0(VALU_DEP_4) | instskip(NEXT) | instid1(VALU_DEP_4)
	v_dual_add_f32 v10, v10, v38 :: v_dual_add_f32 v5, v5, v23
	v_add_f32_e32 v7, v7, v27
	s_delay_alu instid0(VALU_DEP_4) | instskip(NEXT) | instid1(VALU_DEP_4)
	v_add_f32_e32 v8, v8, v31
	v_add_f32_e32 v9, v9, v35
	s_delay_alu instid0(VALU_DEP_4)
	v_add_f32_e32 v10, v10, v39
	s_clause 0xb
	global_store_b32 v41, v40, s[0:1]
	global_store_b32 v41, v42, s[0:1] offset:1024
	global_store_b32 v41, v0, s[0:1] offset:2048
	global_store_b32 v41, v1, s[0:1] offset:3072
	global_store_b32 v6, v4, s[0:1]
	global_store_b32 v6, v2, s[0:1] offset:1024
	global_store_b32 v6, v3, s[0:1] offset:2048
	global_store_b32 v6, v5, s[0:1] offset:3072
	;; [unrolled: 4-line block ×3, first 2 shown]
.LBB27_60:
	s_nop 0
	s_sendmsg sendmsg(MSG_DEALLOC_VGPRS)
	s_endpgm
	.section	.rodata,"a",@progbits
	.p2align	6, 0x0
	.amdhsa_kernel _Z23fp32_router_gemm_kernelIfLi128ELi28ELi256ELi3072EEvPfPKT_PKf
		.amdhsa_group_segment_fixed_size 448
		.amdhsa_private_segment_fixed_size 0
		.amdhsa_kernarg_size 24
		.amdhsa_user_sgpr_count 15
		.amdhsa_user_sgpr_dispatch_ptr 0
		.amdhsa_user_sgpr_queue_ptr 0
		.amdhsa_user_sgpr_kernarg_segment_ptr 1
		.amdhsa_user_sgpr_dispatch_id 0
		.amdhsa_user_sgpr_private_segment_size 0
		.amdhsa_wavefront_size32 1
		.amdhsa_uses_dynamic_stack 0
		.amdhsa_enable_private_segment 0
		.amdhsa_system_sgpr_workgroup_id_x 1
		.amdhsa_system_sgpr_workgroup_id_y 0
		.amdhsa_system_sgpr_workgroup_id_z 0
		.amdhsa_system_sgpr_workgroup_info 0
		.amdhsa_system_vgpr_workitem_id 0
		.amdhsa_next_free_vgpr 97
		.amdhsa_next_free_sgpr 16
		.amdhsa_reserve_vcc 1
		.amdhsa_float_round_mode_32 0
		.amdhsa_float_round_mode_16_64 0
		.amdhsa_float_denorm_mode_32 3
		.amdhsa_float_denorm_mode_16_64 3
		.amdhsa_dx10_clamp 1
		.amdhsa_ieee_mode 1
		.amdhsa_fp16_overflow 0
		.amdhsa_workgroup_processor_mode 1
		.amdhsa_memory_ordered 1
		.amdhsa_forward_progress 0
		.amdhsa_shared_vgpr_count 0
		.amdhsa_exception_fp_ieee_invalid_op 0
		.amdhsa_exception_fp_denorm_src 0
		.amdhsa_exception_fp_ieee_div_zero 0
		.amdhsa_exception_fp_ieee_overflow 0
		.amdhsa_exception_fp_ieee_underflow 0
		.amdhsa_exception_fp_ieee_inexact 0
		.amdhsa_exception_int_div_zero 0
	.end_amdhsa_kernel
	.section	.text._Z23fp32_router_gemm_kernelIfLi128ELi28ELi256ELi3072EEvPfPKT_PKf,"axG",@progbits,_Z23fp32_router_gemm_kernelIfLi128ELi28ELi256ELi3072EEvPfPKT_PKf,comdat
.Lfunc_end27:
	.size	_Z23fp32_router_gemm_kernelIfLi128ELi28ELi256ELi3072EEvPfPKT_PKf, .Lfunc_end27-_Z23fp32_router_gemm_kernelIfLi128ELi28ELi256ELi3072EEvPfPKT_PKf
                                        ; -- End function
	.section	.AMDGPU.csdata,"",@progbits
; Kernel info:
; codeLenInByte = 5776
; NumSgprs: 18
; NumVgprs: 97
; ScratchSize: 0
; MemoryBound: 0
; FloatMode: 240
; IeeeMode: 1
; LDSByteSize: 448 bytes/workgroup (compile time only)
; SGPRBlocks: 2
; VGPRBlocks: 12
; NumSGPRsForWavesPerEU: 18
; NumVGPRsForWavesPerEU: 97
; Occupancy: 12
; WaveLimiterHint : 1
; COMPUTE_PGM_RSRC2:SCRATCH_EN: 0
; COMPUTE_PGM_RSRC2:USER_SGPR: 15
; COMPUTE_PGM_RSRC2:TRAP_HANDLER: 0
; COMPUTE_PGM_RSRC2:TGID_X_EN: 1
; COMPUTE_PGM_RSRC2:TGID_Y_EN: 0
; COMPUTE_PGM_RSRC2:TGID_Z_EN: 0
; COMPUTE_PGM_RSRC2:TIDIG_COMP_CNT: 0
	.section	.text._Z23fp32_router_gemm_kernelIfLi128ELi29ELi256ELi3072EEvPfPKT_PKf,"axG",@progbits,_Z23fp32_router_gemm_kernelIfLi128ELi29ELi256ELi3072EEvPfPKT_PKf,comdat
	.protected	_Z23fp32_router_gemm_kernelIfLi128ELi29ELi256ELi3072EEvPfPKT_PKf ; -- Begin function _Z23fp32_router_gemm_kernelIfLi128ELi29ELi256ELi3072EEvPfPKT_PKf
	.globl	_Z23fp32_router_gemm_kernelIfLi128ELi29ELi256ELi3072EEvPfPKT_PKf
	.p2align	8
	.type	_Z23fp32_router_gemm_kernelIfLi128ELi29ELi256ELi3072EEvPfPKT_PKf,@function
_Z23fp32_router_gemm_kernelIfLi128ELi29ELi256ELi3072EEvPfPKT_PKf: ; @_Z23fp32_router_gemm_kernelIfLi128ELi29ELi256ELi3072EEvPfPKT_PKf
; %bb.0:
	s_clause 0x1
	s_load_b128 s[4:7], s[0:1], 0x0
	s_load_b64 s[0:1], s[0:1], 0x10
	v_dual_mov_b32 v33, 0 :: v_dual_lshlrev_b32 v34, 2, v0
	s_mul_i32 s8, s15, 0xc00
	v_dual_mov_b32 v32, 0 :: v_dual_mov_b32 v31, 0
	s_ashr_i32 s9, s8, 31
	s_delay_alu instid0(VALU_DEP_2)
	v_or_b32_e32 v35, 0x200, v34
	v_or_b32_e32 v36, 0x400, v34
	v_or_b32_e32 v37, 0x600, v34
	v_or_b32_e32 v38, 0x800, v34
	v_or_b32_e32 v39, 0xa00, v34
	s_lshl_b64 s[8:9], s[8:9], 2
	v_dual_mov_b32 v30, 0 :: v_dual_mov_b32 v29, 0
	v_dual_mov_b32 v28, 0 :: v_dual_mov_b32 v27, 0
	;; [unrolled: 1-line block ×13, first 2 shown]
	s_waitcnt lgkmcnt(0)
	s_add_u32 s0, s0, s8
	s_mov_b32 s2, s15
	s_addc_u32 s1, s1, s9
	s_mov_b64 s[8:9], 0
.LBB28_1:                               ; =>This Inner Loop Header: Depth=1
	s_delay_alu instid0(SALU_CYCLE_1)
	s_cmp_eq_u32 s8, 1
	s_cselect_b32 vcc_lo, -1, 0
	s_cmp_eq_u32 s8, 2
	v_cndmask_b32_e32 v1, v34, v35, vcc_lo
	s_cselect_b32 vcc_lo, -1, 0
	s_cmp_eq_u32 s8, 3
	s_delay_alu instid0(VALU_DEP_1) | instskip(SKIP_2) | instid1(VALU_DEP_1)
	v_cndmask_b32_e32 v1, v1, v36, vcc_lo
	s_cselect_b32 vcc_lo, -1, 0
	s_cmp_eq_u32 s8, 4
	v_cndmask_b32_e32 v1, v1, v37, vcc_lo
	s_cselect_b32 vcc_lo, -1, 0
	s_cmp_eq_u32 s8, 5
	s_delay_alu instid0(VALU_DEP_1)
	v_cndmask_b32_e32 v1, v1, v38, vcc_lo
	s_cselect_b32 vcc_lo, -1, 0
	s_add_u32 s8, s8, 1
	s_addc_u32 s9, s9, 0
	s_cmp_eq_u32 s8, 6
	v_cndmask_b32_e32 v1, v1, v39, vcc_lo
	s_delay_alu instid0(VALU_DEP_1)
	v_lshlrev_b32_e32 v44, 2, v1
	s_clause 0x1
	global_load_b128 v[1:4], v44, s[0:1]
	global_load_b128 v[40:43], v44, s[6:7]
	s_waitcnt vmcnt(0)
	v_fmac_f32_e32 v33, v40, v1
	s_delay_alu instid0(VALU_DEP_1) | instskip(SKIP_1) | instid1(VALU_DEP_1)
	v_fmac_f32_e32 v33, v41, v2
	v_add_co_u32 v98, s3, s6, v44
	v_add_co_ci_u32_e64 v99, null, s7, 0, s3
	s_delay_alu instid0(VALU_DEP_3) | instskip(NEXT) | instid1(VALU_DEP_3)
	v_fmac_f32_e32 v33, v42, v3
	v_add_co_u32 v44, vcc_lo, 0x3000, v98
	s_delay_alu instid0(VALU_DEP_3)
	v_add_co_ci_u32_e32 v45, vcc_lo, 0, v99, vcc_lo
	v_add_co_u32 v46, vcc_lo, 0x6000, v98
	v_add_co_ci_u32_e32 v47, vcc_lo, 0, v99, vcc_lo
	v_fmac_f32_e32 v33, v43, v4
	s_clause 0x1
	global_load_b128 v[40:43], v[44:45], off
	global_load_b128 v[44:47], v[46:47], off
	v_add_co_u32 v48, vcc_lo, 0x9000, v98
	v_add_co_ci_u32_e32 v49, vcc_lo, 0, v99, vcc_lo
	v_add_co_u32 v50, vcc_lo, 0xc000, v98
	v_add_co_ci_u32_e32 v51, vcc_lo, 0, v99, vcc_lo
	;; [unrolled: 2-line block ×26, first 2 shown]
	s_waitcnt vmcnt(1)
	v_fmac_f32_e32 v32, v40, v1
	s_waitcnt vmcnt(0)
	s_delay_alu instid0(VALU_DEP_1) | instskip(NEXT) | instid1(VALU_DEP_1)
	v_dual_fmac_f32 v31, v44, v1 :: v_dual_fmac_f32 v32, v41, v2
	v_dual_fmac_f32 v31, v45, v2 :: v_dual_fmac_f32 v32, v42, v3
	s_delay_alu instid0(VALU_DEP_1) | instskip(NEXT) | instid1(VALU_DEP_1)
	v_dual_fmac_f32 v31, v46, v3 :: v_dual_fmac_f32 v32, v43, v4
	v_fmac_f32_e32 v31, v47, v4
	s_clause 0x1
	global_load_b128 v[40:43], v[48:49], off
	global_load_b128 v[44:47], v[50:51], off
	s_waitcnt vmcnt(1)
	v_fmac_f32_e32 v30, v40, v1
	s_waitcnt vmcnt(0)
	s_delay_alu instid0(VALU_DEP_1) | instskip(NEXT) | instid1(VALU_DEP_1)
	v_dual_fmac_f32 v29, v44, v1 :: v_dual_fmac_f32 v30, v41, v2
	v_dual_fmac_f32 v29, v45, v2 :: v_dual_fmac_f32 v30, v42, v3
	s_delay_alu instid0(VALU_DEP_1) | instskip(NEXT) | instid1(VALU_DEP_1)
	v_dual_fmac_f32 v29, v46, v3 :: v_dual_fmac_f32 v30, v43, v4
	v_fmac_f32_e32 v29, v47, v4
	s_clause 0x1
	global_load_b128 v[40:43], v[52:53], off
	global_load_b128 v[44:47], v[54:55], off
	s_waitcnt vmcnt(1)
	v_fmac_f32_e32 v28, v40, v1
	s_waitcnt vmcnt(0)
	s_delay_alu instid0(VALU_DEP_1) | instskip(NEXT) | instid1(VALU_DEP_1)
	v_dual_fmac_f32 v27, v44, v1 :: v_dual_fmac_f32 v28, v41, v2
	v_dual_fmac_f32 v27, v45, v2 :: v_dual_fmac_f32 v28, v42, v3
	s_delay_alu instid0(VALU_DEP_1)
	v_dual_fmac_f32 v27, v46, v3 :: v_dual_fmac_f32 v28, v43, v4
	s_clause 0x1
	global_load_b128 v[40:43], v[56:57], off
	global_load_b128 v[48:51], v[58:59], off
	v_fmac_f32_e32 v27, v47, v4
	s_clause 0x1
	global_load_b128 v[44:47], v[60:61], off
	global_load_b128 v[52:55], v[62:63], off
	s_waitcnt vmcnt(3)
	v_fmac_f32_e32 v26, v40, v1
	s_waitcnt vmcnt(1)
	v_fmac_f32_e32 v24, v44, v1
	s_delay_alu instid0(VALU_DEP_2) | instskip(NEXT) | instid1(VALU_DEP_2)
	v_fmac_f32_e32 v26, v41, v2
	v_fmac_f32_e32 v24, v45, v2
	s_delay_alu instid0(VALU_DEP_2) | instskip(NEXT) | instid1(VALU_DEP_2)
	v_fmac_f32_e32 v26, v42, v3
	v_fmac_f32_e32 v24, v46, v3
	s_delay_alu instid0(VALU_DEP_2)
	v_fmac_f32_e32 v26, v43, v4
	s_clause 0x1
	global_load_b128 v[40:43], v[64:65], off
	global_load_b128 v[56:59], v[66:67], off
	s_waitcnt vmcnt(0)
	v_dual_fmac_f32 v24, v47, v4 :: v_dual_fmac_f32 v21, v56, v1
	s_delay_alu instid0(VALU_DEP_1) | instskip(NEXT) | instid1(VALU_DEP_1)
	v_dual_fmac_f32 v22, v40, v1 :: v_dual_fmac_f32 v21, v57, v2
	v_dual_fmac_f32 v25, v48, v1 :: v_dual_fmac_f32 v22, v41, v2
	s_delay_alu instid0(VALU_DEP_1) | instskip(NEXT) | instid1(VALU_DEP_1)
	v_dual_fmac_f32 v25, v49, v2 :: v_dual_fmac_f32 v22, v42, v3
	v_dual_fmac_f32 v25, v50, v3 :: v_dual_fmac_f32 v22, v43, v4
	s_delay_alu instid0(VALU_DEP_1)
	v_fmac_f32_e32 v25, v51, v4
	s_clause 0x3
	global_load_b128 v[48:51], v[68:69], off
	global_load_b128 v[60:63], v[70:71], off
	;; [unrolled: 1-line block ×4, first 2 shown]
	s_waitcnt vmcnt(3)
	v_fmac_f32_e32 v20, v48, v1
	v_fmac_f32_e32 v23, v52, v1
	s_waitcnt vmcnt(1)
	v_fmac_f32_e32 v18, v44, v1
	s_delay_alu instid0(VALU_DEP_3) | instskip(NEXT) | instid1(VALU_DEP_3)
	v_fmac_f32_e32 v20, v49, v2
	v_fmac_f32_e32 v23, v53, v2
	s_delay_alu instid0(VALU_DEP_3) | instskip(NEXT) | instid1(VALU_DEP_3)
	v_dual_fmac_f32 v18, v45, v2 :: v_dual_fmac_f32 v19, v60, v1
	v_fmac_f32_e32 v20, v50, v3
	s_delay_alu instid0(VALU_DEP_3) | instskip(NEXT) | instid1(VALU_DEP_3)
	v_fmac_f32_e32 v23, v54, v3
	v_fmac_f32_e32 v18, v46, v3
	s_delay_alu instid0(VALU_DEP_3) | instskip(NEXT) | instid1(VALU_DEP_3)
	v_dual_fmac_f32 v21, v58, v3 :: v_dual_fmac_f32 v20, v51, v4
	v_fmac_f32_e32 v23, v55, v4
	s_clause 0x3
	global_load_b128 v[52:55], v[76:77], off
	global_load_b128 v[68:71], v[78:79], off
	;; [unrolled: 1-line block ×4, first 2 shown]
	v_dual_fmac_f32 v19, v61, v2 :: v_dual_fmac_f32 v18, v47, v4
	v_fmac_f32_e32 v21, v59, v4
	s_clause 0x3
	global_load_b128 v[56:59], v[84:85], off
	global_load_b128 v[76:79], v[86:87], off
	;; [unrolled: 1-line block ×4, first 2 shown]
	s_waitcnt vmcnt(7)
	v_fmac_f32_e32 v16, v52, v1
	s_waitcnt vmcnt(5)
	v_dual_fmac_f32 v14, v40, v1 :: v_dual_fmac_f32 v19, v62, v3
	v_fmac_f32_e32 v17, v64, v1
	v_fmac_f32_e32 v15, v68, v1
	s_waitcnt vmcnt(3)
	v_fmac_f32_e32 v12, v56, v1
	v_dual_fmac_f32 v14, v41, v2 :: v_dual_fmac_f32 v19, v63, v4
	s_waitcnt vmcnt(1)
	v_fmac_f32_e32 v10, v48, v1
	s_clause 0x3
	global_load_b128 v[60:63], v[92:93], off
	global_load_b128 v[84:87], v[94:95], off
	global_load_b128 v[44:47], v[96:97], off
	global_load_b128 v[88:91], v[98:99], off
	v_dual_fmac_f32 v13, v72, v1 :: v_dual_fmac_f32 v12, v57, v2
	v_dual_fmac_f32 v11, v76, v1 :: v_dual_fmac_f32 v10, v49, v2
	v_fmac_f32_e32 v16, v53, v2
	s_delay_alu instid0(VALU_DEP_3) | instskip(NEXT) | instid1(VALU_DEP_3)
	v_dual_fmac_f32 v13, v73, v2 :: v_dual_fmac_f32 v14, v42, v3
	v_dual_fmac_f32 v11, v77, v2 :: v_dual_fmac_f32 v12, v58, v3
	v_fmac_f32_e32 v17, v65, v2
	v_fmac_f32_e32 v15, v69, v2
	s_delay_alu instid0(VALU_DEP_4) | instskip(SKIP_1) | instid1(VALU_DEP_4)
	v_fmac_f32_e32 v13, v74, v3
	v_fmac_f32_e32 v16, v54, v3
	v_dual_fmac_f32 v12, v59, v4 :: v_dual_fmac_f32 v17, v66, v3
	s_delay_alu instid0(VALU_DEP_4)
	v_dual_fmac_f32 v15, v70, v3 :: v_dual_fmac_f32 v14, v43, v4
	v_fmac_f32_e32 v10, v50, v3
	v_fmac_f32_e32 v11, v78, v3
	;; [unrolled: 1-line block ×7, first 2 shown]
	s_waitcnt vmcnt(3)
	v_dual_fmac_f32 v11, v79, v4 :: v_dual_fmac_f32 v8, v60, v1
	v_fmac_f32_e32 v9, v80, v1
	s_waitcnt vmcnt(1)
	v_fmac_f32_e32 v6, v44, v1
	v_fmac_f32_e32 v7, v84, v1
	s_waitcnt vmcnt(0)
	v_dual_fmac_f32 v5, v88, v1 :: v_dual_fmac_f32 v8, v61, v2
	v_fmac_f32_e32 v9, v81, v2
	v_fmac_f32_e32 v6, v45, v2
	;; [unrolled: 1-line block ×3, first 2 shown]
	s_delay_alu instid0(VALU_DEP_4) | instskip(NEXT) | instid1(VALU_DEP_4)
	v_dual_fmac_f32 v5, v89, v2 :: v_dual_fmac_f32 v8, v62, v3
	v_fmac_f32_e32 v9, v82, v3
	s_delay_alu instid0(VALU_DEP_4) | instskip(NEXT) | instid1(VALU_DEP_4)
	v_fmac_f32_e32 v6, v46, v3
	v_fmac_f32_e32 v7, v86, v3
	s_delay_alu instid0(VALU_DEP_4) | instskip(NEXT) | instid1(VALU_DEP_4)
	v_dual_fmac_f32 v5, v90, v3 :: v_dual_fmac_f32 v8, v63, v4
	v_fmac_f32_e32 v9, v83, v4
	s_delay_alu instid0(VALU_DEP_4) | instskip(NEXT) | instid1(VALU_DEP_4)
	v_fmac_f32_e32 v6, v47, v4
	v_fmac_f32_e32 v7, v87, v4
	s_delay_alu instid0(VALU_DEP_4)
	v_fmac_f32_e32 v5, v91, v4
	s_cbranch_scc0 .LBB28_1
; %bb.2:
	v_mbcnt_lo_u32_b32 v34, -1, 0
	v_lshrrev_b32_e32 v37, 5, v0
	s_delay_alu instid0(VALU_DEP_2) | instskip(SKIP_2) | instid1(VALU_DEP_3)
	v_xor_b32_e32 v1, 16, v34
	v_xor_b32_e32 v2, 8, v34
	;; [unrolled: 1-line block ×3, first 2 shown]
	v_cmp_gt_i32_e32 vcc_lo, 32, v1
	v_cndmask_b32_e32 v1, v34, v1, vcc_lo
	s_delay_alu instid0(VALU_DEP_4) | instskip(SKIP_1) | instid1(VALU_DEP_1)
	v_cmp_gt_i32_e32 vcc_lo, 32, v2
	v_cndmask_b32_e32 v2, v34, v2, vcc_lo
	v_lshlrev_b32_e32 v2, 2, v2
	s_delay_alu instid0(VALU_DEP_4)
	v_lshlrev_b32_e32 v1, 2, v1
	ds_bpermute_b32 v3, v1, v33
	s_waitcnt lgkmcnt(0)
	v_add_f32_e32 v4, v33, v3
	v_xor_b32_e32 v3, 4, v34
	ds_bpermute_b32 v33, v2, v4
	v_cmp_gt_i32_e32 vcc_lo, 32, v3
	v_cndmask_b32_e32 v3, v34, v3, vcc_lo
	s_waitcnt lgkmcnt(0)
	v_add_f32_e32 v33, v4, v33
	v_xor_b32_e32 v4, 2, v34
	s_delay_alu instid0(VALU_DEP_1) | instskip(SKIP_2) | instid1(VALU_DEP_2)
	v_cmp_gt_i32_e32 vcc_lo, 32, v4
	v_cndmask_b32_e32 v4, v34, v4, vcc_lo
	v_cmp_gt_i32_e32 vcc_lo, 32, v36
	v_lshlrev_b32_e32 v4, 2, v4
	v_dual_cndmask_b32 v34, v34, v36 :: v_dual_lshlrev_b32 v3, 2, v3
	ds_bpermute_b32 v35, v3, v33
	s_waitcnt lgkmcnt(0)
	v_add_f32_e32 v33, v33, v35
	ds_bpermute_b32 v35, v4, v33
	s_waitcnt lgkmcnt(0)
	v_dual_add_f32 v35, v33, v35 :: v_dual_lshlrev_b32 v34, 2, v34
	v_and_b32_e32 v33, 31, v0
	ds_bpermute_b32 v36, v34, v35
	v_cmp_eq_u32_e32 vcc_lo, 0, v33
	v_lshlrev_b32_e32 v33, 2, v37
	s_and_saveexec_b32 s0, vcc_lo
	s_cbranch_execz .LBB28_4
; %bb.3:
	s_waitcnt lgkmcnt(0)
	v_add_f32_e32 v35, v35, v36
	ds_store_b32 v33, v35
.LBB28_4:
	s_or_b32 exec_lo, exec_lo, s0
	ds_bpermute_b32 v35, v1, v32
	s_waitcnt lgkmcnt(0)
	v_add_f32_e32 v32, v32, v35
	ds_bpermute_b32 v35, v2, v32
	s_waitcnt lgkmcnt(0)
	v_add_f32_e32 v32, v32, v35
	ds_bpermute_b32 v35, v3, v32
	s_waitcnt lgkmcnt(0)
	v_add_f32_e32 v32, v32, v35
	ds_bpermute_b32 v35, v4, v32
	s_waitcnt lgkmcnt(0)
	v_add_f32_e32 v32, v32, v35
	ds_bpermute_b32 v35, v34, v32
	s_and_saveexec_b32 s0, vcc_lo
	s_cbranch_execz .LBB28_6
; %bb.5:
	s_waitcnt lgkmcnt(0)
	v_add_f32_e32 v32, v32, v35
	ds_store_b32 v33, v32 offset:16
.LBB28_6:
	s_or_b32 exec_lo, exec_lo, s0
	ds_bpermute_b32 v32, v1, v31
	s_waitcnt lgkmcnt(0)
	v_add_f32_e32 v31, v31, v32
	ds_bpermute_b32 v32, v2, v31
	s_waitcnt lgkmcnt(0)
	v_add_f32_e32 v31, v31, v32
	ds_bpermute_b32 v32, v3, v31
	s_waitcnt lgkmcnt(0)
	v_add_f32_e32 v31, v31, v32
	ds_bpermute_b32 v32, v4, v31
	s_waitcnt lgkmcnt(0)
	v_add_f32_e32 v31, v31, v32
	ds_bpermute_b32 v32, v34, v31
	s_and_saveexec_b32 s0, vcc_lo
	s_cbranch_execz .LBB28_8
; %bb.7:
	s_waitcnt lgkmcnt(0)
	v_add_f32_e32 v31, v31, v32
	ds_store_b32 v33, v31 offset:32
.LBB28_8:
	;; [unrolled: 21-line block ×28, first 2 shown]
	s_or_b32 exec_lo, exec_lo, s0
	s_waitcnt lgkmcnt(0)
	s_barrier
	buffer_gl0_inv
	s_mov_b32 s0, exec_lo
	v_cmpx_eq_u32_e32 0, v0
	s_cbranch_execz .LBB28_62
; %bb.61:
	v_mov_b32_e32 v40, 0
	s_ashr_i32 s3, s2, 31
	ds_load_b128 v[0:3], v40
	ds_load_b128 v[4:7], v40 offset:16
	ds_load_b128 v[8:11], v40 offset:32
	;; [unrolled: 1-line block ×7, first 2 shown]
	s_lshl_b64 s[0:1], s[2:3], 2
	s_delay_alu instid0(SALU_CYCLE_1)
	s_add_u32 s0, s4, s0
	s_addc_u32 s1, s5, s1
	s_waitcnt lgkmcnt(4)
	v_add_f32_e32 v12, 0, v12
	v_add_f32_e32 v0, 0, v0
	s_waitcnt lgkmcnt(2)
	v_add_f32_e32 v20, 0, v20
	v_add_f32_e32 v4, 0, v4
	;; [unrolled: 1-line block ×3, first 2 shown]
	s_waitcnt lgkmcnt(0)
	v_add_f32_e32 v28, 0, v28
	v_add_f32_e32 v0, v0, v1
	v_dual_add_f32 v8, 0, v8 :: v_dual_add_f32 v1, v4, v5
	ds_load_b128 v[32:35], v40 offset:128
	ds_load_b128 v[36:39], v40 offset:144
	v_add_f32_e32 v1, v1, v6
	v_add_f32_e32 v5, v12, v13
	;; [unrolled: 1-line block ×4, first 2 shown]
	s_delay_alu instid0(VALU_DEP_4) | instskip(SKIP_1) | instid1(VALU_DEP_4)
	v_dual_add_f32 v8, v16, v17 :: v_dual_add_f32 v17, v1, v7
	v_add_f32_e32 v9, v20, v21
	v_dual_mov_b32 v21, 0x1000 :: v_dual_add_f32 v6, v13, v30
	s_waitcnt lgkmcnt(1)
	v_dual_add_f32 v7, 0, v32 :: v_dual_add_f32 v0, v0, v2
	v_add_f32_e32 v2, v4, v10
	v_add_f32_e32 v4, v5, v14
	v_dual_add_f32 v5, v8, v18 :: v_dual_add_f32 v24, 0, v24
	s_delay_alu instid0(VALU_DEP_3) | instskip(NEXT) | instid1(VALU_DEP_3)
	v_add_f32_e32 v18, v2, v11
	v_add_f32_e32 v20, v4, v15
	s_delay_alu instid0(VALU_DEP_3)
	v_dual_add_f32 v19, v5, v19 :: v_dual_add_f32 v12, v24, v25
	v_dual_add_f32 v25, v7, v33 :: v_dual_add_f32 v16, v0, v3
	ds_load_b128 v[0:3], v40 offset:160
	v_dual_add_f32 v24, v6, v31 :: v_dual_add_f32 v5, v12, v26
	s_waitcnt lgkmcnt(0)
	v_add_f32_e32 v0, 0, v0
	s_delay_alu instid0(VALU_DEP_1) | instskip(NEXT) | instid1(VALU_DEP_1)
	v_add_f32_e32 v0, v0, v1
	v_add_f32_e32 v0, v0, v2
	v_add_f32_e32 v4, v9, v22
	s_delay_alu instid0(VALU_DEP_1)
	v_add_f32_e32 v22, v4, v23
	v_add_f32_e32 v23, v5, v27
	ds_load_b128 v[4:7], v40 offset:176
	ds_load_b128 v[8:11], v40 offset:192
	v_add_f32_e32 v26, 0, v36
	ds_load_b128 v[12:15], v40 offset:208
	s_waitcnt lgkmcnt(2)
	v_add_f32_e32 v1, 0, v4
	s_delay_alu instid0(VALU_DEP_1)
	v_add_f32_e32 v1, v1, v5
	s_clause 0x7
	global_store_b32 v40, v16, s[0:1]
	global_store_b32 v40, v17, s[0:1] offset:1024
	global_store_b32 v40, v18, s[0:1] offset:2048
	;; [unrolled: 1-line block ×3, first 2 shown]
	global_store_b32 v21, v19, s[0:1]
	global_store_b32 v21, v22, s[0:1] offset:1024
	global_store_b32 v21, v23, s[0:1] offset:2048
	;; [unrolled: 1-line block ×3, first 2 shown]
	v_dual_add_f32 v24, v25, v34 :: v_dual_add_f32 v25, v26, v37
	ds_load_b128 v[16:19], v40 offset:224
	ds_load_b128 v[20:23], v40 offset:240
	v_dual_mov_b32 v37, 0x2000 :: v_dual_add_f32 v36, v24, v35
	v_add_f32_e32 v28, v25, v38
	ds_load_b128 v[24:27], v40 offset:256
	v_add_f32_e32 v38, v28, v39
	ds_load_b128 v[28:31], v40 offset:272
	ds_load_b128 v[32:35], v40 offset:288
	s_waitcnt lgkmcnt(6)
	v_dual_add_f32 v4, 0, v8 :: v_dual_add_f32 v39, v0, v3
	v_add_f32_e32 v0, v1, v6
	s_delay_alu instid0(VALU_DEP_2) | instskip(SKIP_4) | instid1(VALU_DEP_2)
	v_add_f32_e32 v2, v4, v9
	s_waitcnt lgkmcnt(5)
	v_add_f32_e32 v4, 0, v12
	s_waitcnt lgkmcnt(4)
	v_add_f32_e32 v3, 0, v16
	v_dual_add_f32 v1, v2, v10 :: v_dual_add_f32 v2, v4, v13
	s_waitcnt lgkmcnt(3)
	v_add_f32_e32 v4, 0, v20
	v_add_f32_e32 v20, v0, v7
	s_delay_alu instid0(VALU_DEP_3)
	v_dual_add_f32 v41, v1, v11 :: v_dual_add_f32 v0, v2, v14
	v_add_f32_e32 v1, v3, v17
	s_waitcnt lgkmcnt(2)
	v_dual_add_f32 v2, v4, v21 :: v_dual_add_f32 v3, 0, v24
	s_waitcnt lgkmcnt(1)
	v_dual_add_f32 v7, 0, v28 :: v_dual_add_f32 v24, v0, v15
	v_add_f32_e32 v4, v1, v18
	s_delay_alu instid0(VALU_DEP_3)
	v_dual_add_f32 v5, v2, v22 :: v_dual_add_f32 v6, v3, v25
	ds_load_b128 v[0:3], v40 offset:304
	s_waitcnt lgkmcnt(1)
	v_add_f32_e32 v8, 0, v32
	v_add_f32_e32 v22, v4, v19
	;; [unrolled: 1-line block ×3, first 2 shown]
	v_dual_add_f32 v25, v6, v26 :: v_dual_add_f32 v26, v7, v29
	s_delay_alu instid0(VALU_DEP_4)
	v_add_f32_e32 v28, v8, v33
	ds_load_b128 v[4:7], v40 offset:320
	ds_load_b128 v[8:11], v40 offset:336
	;; [unrolled: 1-line block ×4, first 2 shown]
	s_waitcnt lgkmcnt(4)
	v_dual_mov_b32 v21, 0x3000 :: v_dual_add_f32 v0, 0, v0
	s_waitcnt lgkmcnt(3)
	s_delay_alu instid0(VALU_DEP_1)
	v_dual_add_f32 v0, v0, v1 :: v_dual_add_f32 v1, 0, v4
	s_waitcnt lgkmcnt(2)
	v_add_f32_e32 v4, 0, v8
	s_waitcnt lgkmcnt(1)
	v_add_f32_e32 v8, 0, v12
	v_dual_add_f32 v0, v0, v2 :: v_dual_add_f32 v1, v1, v5
	s_waitcnt lgkmcnt(0)
	v_dual_add_f32 v5, 0, v16 :: v_dual_add_f32 v2, v4, v9
	s_delay_alu instid0(VALU_DEP_3) | instskip(NEXT) | instid1(VALU_DEP_3)
	v_add_f32_e32 v4, v8, v13
	v_add_f32_e32 v8, v0, v3
	;; [unrolled: 1-line block ×3, first 2 shown]
	s_delay_alu instid0(VALU_DEP_4)
	v_add_f32_e32 v5, v5, v17
	s_clause 0x7
	global_store_b32 v37, v36, s[0:1]
	global_store_b32 v37, v38, s[0:1] offset:1024
	global_store_b32 v37, v39, s[0:1] offset:2048
	;; [unrolled: 1-line block ×3, first 2 shown]
	global_store_b32 v21, v41, s[0:1]
	global_store_b32 v21, v24, s[0:1] offset:1024
	global_store_b32 v21, v22, s[0:1] offset:2048
	;; [unrolled: 1-line block ×3, first 2 shown]
	v_add_f32_e32 v20, v26, v30
	v_dual_add_f32 v21, v28, v34 :: v_dual_add_f32 v36, v25, v27
	v_add_f32_e32 v9, v2, v10
	s_delay_alu instid0(VALU_DEP_3) | instskip(NEXT) | instid1(VALU_DEP_3)
	v_dual_add_f32 v5, v5, v18 :: v_dual_add_f32 v38, v20, v31
	v_add_f32_e32 v39, v21, v35
	ds_load_b128 v[20:23], v40 offset:384
	ds_load_b128 v[0:3], v40 offset:400
	;; [unrolled: 1-line block ×5, first 2 shown]
	v_dual_mov_b32 v37, 0x4000 :: v_dual_add_f32 v4, v4, v14
	v_dual_add_f32 v6, v6, v7 :: v_dual_mov_b32 v7, 0x5000
	v_add_f32_e32 v5, v5, v19
	v_add_f32_e32 v9, v9, v11
	s_delay_alu instid0(VALU_DEP_4)
	v_add_f32_e32 v4, v4, v15
	s_clause 0x7
	global_store_b32 v37, v36, s[0:1]
	global_store_b32 v37, v38, s[0:1] offset:1024
	global_store_b32 v37, v39, s[0:1] offset:2048
	;; [unrolled: 1-line block ×3, first 2 shown]
	global_store_b32 v7, v6, s[0:1]
	global_store_b32 v7, v9, s[0:1] offset:1024
	global_store_b32 v7, v4, s[0:1] offset:2048
	global_store_b32 v7, v5, s[0:1] offset:3072
	s_waitcnt lgkmcnt(3)
	v_add_f32_e32 v0, 0, v0
	s_waitcnt lgkmcnt(2)
	v_add_f32_e32 v5, 0, v24
	v_add_f32_e32 v10, 0, v20
	s_waitcnt lgkmcnt(1)
	v_add_f32_e32 v6, 0, v28
	s_waitcnt lgkmcnt(0)
	v_dual_add_f32 v7, 0, v32 :: v_dual_add_f32 v0, v0, v1
	v_add_f32_e32 v1, v5, v25
	v_add_f32_e32 v4, v10, v21
	;; [unrolled: 1-line block ×3, first 2 shown]
	s_delay_alu instid0(VALU_DEP_4)
	v_add_f32_e32 v6, v7, v33
	v_add_f32_e32 v0, v0, v2
	;; [unrolled: 1-line block ×5, first 2 shown]
	v_dual_add_f32 v5, v6, v34 :: v_dual_mov_b32 v6, 0x6000
	v_add_f32_e32 v0, v0, v3
	s_delay_alu instid0(VALU_DEP_4) | instskip(SKIP_1) | instid1(VALU_DEP_4)
	v_add_f32_e32 v4, v4, v23
	v_add_f32_e32 v1, v1, v27
	;; [unrolled: 1-line block ×3, first 2 shown]
	v_dual_add_f32 v2, v2, v31 :: v_dual_mov_b32 v5, 0x7000
	s_clause 0x4
	global_store_b32 v6, v4, s[0:1]
	global_store_b32 v6, v0, s[0:1] offset:1024
	global_store_b32 v6, v1, s[0:1] offset:2048
	global_store_b32 v6, v2, s[0:1] offset:3072
	global_store_b32 v5, v3, s[0:1]
.LBB28_62:
	s_nop 0
	s_sendmsg sendmsg(MSG_DEALLOC_VGPRS)
	s_endpgm
	.section	.rodata,"a",@progbits
	.p2align	6, 0x0
	.amdhsa_kernel _Z23fp32_router_gemm_kernelIfLi128ELi29ELi256ELi3072EEvPfPKT_PKf
		.amdhsa_group_segment_fixed_size 464
		.amdhsa_private_segment_fixed_size 0
		.amdhsa_kernarg_size 24
		.amdhsa_user_sgpr_count 15
		.amdhsa_user_sgpr_dispatch_ptr 0
		.amdhsa_user_sgpr_queue_ptr 0
		.amdhsa_user_sgpr_kernarg_segment_ptr 1
		.amdhsa_user_sgpr_dispatch_id 0
		.amdhsa_user_sgpr_private_segment_size 0
		.amdhsa_wavefront_size32 1
		.amdhsa_uses_dynamic_stack 0
		.amdhsa_enable_private_segment 0
		.amdhsa_system_sgpr_workgroup_id_x 1
		.amdhsa_system_sgpr_workgroup_id_y 0
		.amdhsa_system_sgpr_workgroup_id_z 0
		.amdhsa_system_sgpr_workgroup_info 0
		.amdhsa_system_vgpr_workitem_id 0
		.amdhsa_next_free_vgpr 100
		.amdhsa_next_free_sgpr 16
		.amdhsa_reserve_vcc 1
		.amdhsa_float_round_mode_32 0
		.amdhsa_float_round_mode_16_64 0
		.amdhsa_float_denorm_mode_32 3
		.amdhsa_float_denorm_mode_16_64 3
		.amdhsa_dx10_clamp 1
		.amdhsa_ieee_mode 1
		.amdhsa_fp16_overflow 0
		.amdhsa_workgroup_processor_mode 1
		.amdhsa_memory_ordered 1
		.amdhsa_forward_progress 0
		.amdhsa_shared_vgpr_count 0
		.amdhsa_exception_fp_ieee_invalid_op 0
		.amdhsa_exception_fp_denorm_src 0
		.amdhsa_exception_fp_ieee_div_zero 0
		.amdhsa_exception_fp_ieee_overflow 0
		.amdhsa_exception_fp_ieee_underflow 0
		.amdhsa_exception_fp_ieee_inexact 0
		.amdhsa_exception_int_div_zero 0
	.end_amdhsa_kernel
	.section	.text._Z23fp32_router_gemm_kernelIfLi128ELi29ELi256ELi3072EEvPfPKT_PKf,"axG",@progbits,_Z23fp32_router_gemm_kernelIfLi128ELi29ELi256ELi3072EEvPfPKT_PKf,comdat
.Lfunc_end28:
	.size	_Z23fp32_router_gemm_kernelIfLi128ELi29ELi256ELi3072EEvPfPKT_PKf, .Lfunc_end28-_Z23fp32_router_gemm_kernelIfLi128ELi29ELi256ELi3072EEvPfPKT_PKf
                                        ; -- End function
	.section	.AMDGPU.csdata,"",@progbits
; Kernel info:
; codeLenInByte = 5952
; NumSgprs: 18
; NumVgprs: 100
; ScratchSize: 0
; MemoryBound: 0
; FloatMode: 240
; IeeeMode: 1
; LDSByteSize: 464 bytes/workgroup (compile time only)
; SGPRBlocks: 2
; VGPRBlocks: 12
; NumSGPRsForWavesPerEU: 18
; NumVGPRsForWavesPerEU: 100
; Occupancy: 12
; WaveLimiterHint : 1
; COMPUTE_PGM_RSRC2:SCRATCH_EN: 0
; COMPUTE_PGM_RSRC2:USER_SGPR: 15
; COMPUTE_PGM_RSRC2:TRAP_HANDLER: 0
; COMPUTE_PGM_RSRC2:TGID_X_EN: 1
; COMPUTE_PGM_RSRC2:TGID_Y_EN: 0
; COMPUTE_PGM_RSRC2:TGID_Z_EN: 0
; COMPUTE_PGM_RSRC2:TIDIG_COMP_CNT: 0
	.section	.text._Z23fp32_router_gemm_kernelIfLi128ELi30ELi256ELi3072EEvPfPKT_PKf,"axG",@progbits,_Z23fp32_router_gemm_kernelIfLi128ELi30ELi256ELi3072EEvPfPKT_PKf,comdat
	.protected	_Z23fp32_router_gemm_kernelIfLi128ELi30ELi256ELi3072EEvPfPKT_PKf ; -- Begin function _Z23fp32_router_gemm_kernelIfLi128ELi30ELi256ELi3072EEvPfPKT_PKf
	.globl	_Z23fp32_router_gemm_kernelIfLi128ELi30ELi256ELi3072EEvPfPKT_PKf
	.p2align	8
	.type	_Z23fp32_router_gemm_kernelIfLi128ELi30ELi256ELi3072EEvPfPKT_PKf,@function
_Z23fp32_router_gemm_kernelIfLi128ELi30ELi256ELi3072EEvPfPKT_PKf: ; @_Z23fp32_router_gemm_kernelIfLi128ELi30ELi256ELi3072EEvPfPKT_PKf
; %bb.0:
	s_clause 0x1
	s_load_b128 s[4:7], s[0:1], 0x0
	s_load_b64 s[0:1], s[0:1], 0x10
	v_dual_mov_b32 v34, 0 :: v_dual_lshlrev_b32 v35, 2, v0
	s_mul_i32 s8, s15, 0xc00
	v_dual_mov_b32 v33, 0 :: v_dual_mov_b32 v32, 0
	s_ashr_i32 s9, s8, 31
	s_delay_alu instid0(VALU_DEP_2)
	v_or_b32_e32 v36, 0x200, v35
	v_or_b32_e32 v37, 0x400, v35
	;; [unrolled: 1-line block ×5, first 2 shown]
	s_lshl_b64 s[8:9], s[8:9], 2
	v_dual_mov_b32 v31, 0 :: v_dual_mov_b32 v30, 0
	v_dual_mov_b32 v29, 0 :: v_dual_mov_b32 v28, 0
	v_dual_mov_b32 v27, 0 :: v_dual_mov_b32 v26, 0
	v_dual_mov_b32 v25, 0 :: v_dual_mov_b32 v24, 0
	v_dual_mov_b32 v23, 0 :: v_dual_mov_b32 v22, 0
	v_dual_mov_b32 v21, 0 :: v_dual_mov_b32 v20, 0
	v_dual_mov_b32 v19, 0 :: v_dual_mov_b32 v18, 0
	v_dual_mov_b32 v17, 0 :: v_dual_mov_b32 v16, 0
	v_dual_mov_b32 v15, 0 :: v_dual_mov_b32 v14, 0
	v_dual_mov_b32 v13, 0 :: v_dual_mov_b32 v12, 0
	v_dual_mov_b32 v11, 0 :: v_dual_mov_b32 v10, 0
	v_dual_mov_b32 v9, 0 :: v_dual_mov_b32 v8, 0
	v_dual_mov_b32 v7, 0 :: v_dual_mov_b32 v6, 0
	v_mov_b32_e32 v5, 0
	s_waitcnt lgkmcnt(0)
	s_add_u32 s0, s0, s8
	s_mov_b32 s2, s15
	s_addc_u32 s1, s1, s9
	s_mov_b64 s[8:9], 0
.LBB29_1:                               ; =>This Inner Loop Header: Depth=1
	s_delay_alu instid0(SALU_CYCLE_1)
	s_cmp_eq_u32 s8, 1
	s_cselect_b32 vcc_lo, -1, 0
	s_cmp_eq_u32 s8, 2
	v_cndmask_b32_e32 v1, v35, v36, vcc_lo
	s_cselect_b32 vcc_lo, -1, 0
	s_cmp_eq_u32 s8, 3
	s_delay_alu instid0(VALU_DEP_1) | instskip(SKIP_2) | instid1(VALU_DEP_1)
	v_cndmask_b32_e32 v1, v1, v37, vcc_lo
	s_cselect_b32 vcc_lo, -1, 0
	s_cmp_eq_u32 s8, 4
	v_cndmask_b32_e32 v1, v1, v38, vcc_lo
	s_cselect_b32 vcc_lo, -1, 0
	s_cmp_eq_u32 s8, 5
	s_delay_alu instid0(VALU_DEP_1)
	v_cndmask_b32_e32 v1, v1, v39, vcc_lo
	s_cselect_b32 vcc_lo, -1, 0
	s_add_u32 s8, s8, 1
	s_addc_u32 s9, s9, 0
	s_cmp_eq_u32 s8, 6
	v_cndmask_b32_e32 v1, v1, v40, vcc_lo
	s_delay_alu instid0(VALU_DEP_1) | instskip(SKIP_4) | instid1(VALU_DEP_1)
	v_lshlrev_b32_e32 v45, 2, v1
	s_clause 0x1
	global_load_b128 v[1:4], v45, s[0:1]
	global_load_b128 v[41:44], v45, s[6:7]
	v_add_co_u32 v101, s3, s6, v45
	v_add_co_ci_u32_e64 v102, null, s7, 0, s3
	s_delay_alu instid0(VALU_DEP_2) | instskip(NEXT) | instid1(VALU_DEP_2)
	v_add_co_u32 v45, vcc_lo, 0x3000, v101
	v_add_co_ci_u32_e32 v46, vcc_lo, 0, v102, vcc_lo
	v_add_co_u32 v47, vcc_lo, 0x6000, v101
	v_add_co_ci_u32_e32 v48, vcc_lo, 0, v102, vcc_lo
	;; [unrolled: 2-line block ×29, first 2 shown]
	s_waitcnt vmcnt(0)
	v_fmac_f32_e32 v34, v41, v1
	s_delay_alu instid0(VALU_DEP_1) | instskip(NEXT) | instid1(VALU_DEP_1)
	v_fmac_f32_e32 v34, v42, v2
	v_fmac_f32_e32 v34, v43, v3
	s_delay_alu instid0(VALU_DEP_1)
	v_fmac_f32_e32 v34, v44, v4
	s_clause 0x1
	global_load_b128 v[41:44], v[45:46], off
	global_load_b128 v[45:48], v[47:48], off
	s_waitcnt vmcnt(1)
	v_fmac_f32_e32 v33, v41, v1
	s_waitcnt vmcnt(0)
	s_delay_alu instid0(VALU_DEP_1) | instskip(NEXT) | instid1(VALU_DEP_1)
	v_dual_fmac_f32 v32, v45, v1 :: v_dual_fmac_f32 v33, v42, v2
	v_dual_fmac_f32 v32, v46, v2 :: v_dual_fmac_f32 v33, v43, v3
	s_delay_alu instid0(VALU_DEP_1) | instskip(NEXT) | instid1(VALU_DEP_1)
	v_dual_fmac_f32 v32, v47, v3 :: v_dual_fmac_f32 v33, v44, v4
	v_fmac_f32_e32 v32, v48, v4
	s_clause 0x1
	global_load_b128 v[41:44], v[49:50], off
	global_load_b128 v[45:48], v[51:52], off
	s_waitcnt vmcnt(0)
	v_fmac_f32_e32 v30, v45, v1
	s_delay_alu instid0(VALU_DEP_1) | instskip(NEXT) | instid1(VALU_DEP_1)
	v_dual_fmac_f32 v30, v46, v2 :: v_dual_fmac_f32 v31, v41, v1
	v_dual_fmac_f32 v30, v47, v3 :: v_dual_fmac_f32 v31, v42, v2
	s_delay_alu instid0(VALU_DEP_1) | instskip(NEXT) | instid1(VALU_DEP_1)
	v_dual_fmac_f32 v30, v48, v4 :: v_dual_fmac_f32 v31, v43, v3
	v_fmac_f32_e32 v31, v44, v4
	s_clause 0x1
	global_load_b128 v[41:44], v[53:54], off
	global_load_b128 v[45:48], v[55:56], off
	s_waitcnt vmcnt(0)
	v_fmac_f32_e32 v28, v45, v1
	s_delay_alu instid0(VALU_DEP_1) | instskip(NEXT) | instid1(VALU_DEP_1)
	v_dual_fmac_f32 v28, v46, v2 :: v_dual_fmac_f32 v29, v41, v1
	v_dual_fmac_f32 v28, v47, v3 :: v_dual_fmac_f32 v29, v42, v2
	s_delay_alu instid0(VALU_DEP_1) | instskip(NEXT) | instid1(VALU_DEP_1)
	v_dual_fmac_f32 v28, v48, v4 :: v_dual_fmac_f32 v29, v43, v3
	v_fmac_f32_e32 v29, v44, v4
	s_clause 0x2
	global_load_b128 v[41:44], v[57:58], off
	global_load_b128 v[45:48], v[59:60], off
	;; [unrolled: 1-line block ×3, first 2 shown]
	s_waitcnt vmcnt(1)
	v_fmac_f32_e32 v26, v45, v1
	s_delay_alu instid0(VALU_DEP_1) | instskip(NEXT) | instid1(VALU_DEP_1)
	v_dual_fmac_f32 v26, v46, v2 :: v_dual_fmac_f32 v27, v41, v1
	v_dual_fmac_f32 v26, v47, v3 :: v_dual_fmac_f32 v27, v42, v2
	s_delay_alu instid0(VALU_DEP_1) | instskip(NEXT) | instid1(VALU_DEP_1)
	v_dual_fmac_f32 v26, v48, v4 :: v_dual_fmac_f32 v27, v43, v3
	v_fmac_f32_e32 v27, v44, v4
	s_clause 0x3
	global_load_b128 v[41:44], v[63:64], off
	global_load_b128 v[53:56], v[65:66], off
	;; [unrolled: 1-line block ×4, first 2 shown]
	s_waitcnt vmcnt(3)
	v_fmac_f32_e32 v24, v41, v1
	s_waitcnt vmcnt(1)
	v_fmac_f32_e32 v22, v45, v1
	s_delay_alu instid0(VALU_DEP_2) | instskip(NEXT) | instid1(VALU_DEP_2)
	v_dual_fmac_f32 v24, v42, v2 :: v_dual_fmac_f32 v25, v49, v1
	v_dual_fmac_f32 v22, v46, v2 :: v_dual_fmac_f32 v23, v53, v1
	s_delay_alu instid0(VALU_DEP_2) | instskip(NEXT) | instid1(VALU_DEP_2)
	v_dual_fmac_f32 v24, v43, v3 :: v_dual_fmac_f32 v25, v50, v2
	v_dual_fmac_f32 v22, v47, v3 :: v_dual_fmac_f32 v23, v54, v2
	s_delay_alu instid0(VALU_DEP_2) | instskip(NEXT) | instid1(VALU_DEP_2)
	v_dual_fmac_f32 v24, v44, v4 :: v_dual_fmac_f32 v25, v51, v3
	v_fmac_f32_e32 v22, v48, v4
	s_delay_alu instid0(VALU_DEP_2)
	v_fmac_f32_e32 v25, v52, v4
	s_clause 0x3
	global_load_b128 v[49:52], v[71:72], off
	global_load_b128 v[61:64], v[73:74], off
	;; [unrolled: 1-line block ×4, first 2 shown]
	s_waitcnt vmcnt(3)
	v_dual_fmac_f32 v23, v55, v3 :: v_dual_fmac_f32 v20, v49, v1
	s_delay_alu instid0(VALU_DEP_1)
	v_fmac_f32_e32 v23, v56, v4
	s_clause 0x3
	global_load_b128 v[53:56], v[79:80], off
	global_load_b128 v[69:72], v[81:82], off
	;; [unrolled: 1-line block ×4, first 2 shown]
	s_waitcnt vmcnt(5)
	v_fmac_f32_e32 v18, v41, v1
	v_dual_fmac_f32 v20, v50, v2 :: v_dual_fmac_f32 v21, v57, v1
	s_delay_alu instid0(VALU_DEP_2) | instskip(NEXT) | instid1(VALU_DEP_2)
	v_fmac_f32_e32 v18, v42, v2
	v_dual_fmac_f32 v20, v51, v3 :: v_dual_fmac_f32 v21, v58, v2
	s_delay_alu instid0(VALU_DEP_2) | instskip(NEXT) | instid1(VALU_DEP_2)
	v_dual_fmac_f32 v19, v61, v1 :: v_dual_fmac_f32 v18, v43, v3
	v_dual_fmac_f32 v20, v52, v4 :: v_dual_fmac_f32 v21, v59, v3
	s_delay_alu instid0(VALU_DEP_2) | instskip(NEXT) | instid1(VALU_DEP_2)
	v_dual_fmac_f32 v19, v62, v2 :: v_dual_fmac_f32 v18, v44, v4
	v_fmac_f32_e32 v21, v60, v4
	s_clause 0x1
	global_load_b128 v[57:60], v[87:88], off
	global_load_b128 v[77:80], v[89:90], off
	v_fmac_f32_e32 v19, v63, v3
	s_clause 0x1
	global_load_b128 v[49:52], v[91:92], off
	global_load_b128 v[81:84], v[93:94], off
	s_waitcnt vmcnt(7)
	v_dual_fmac_f32 v16, v53, v1 :: v_dual_fmac_f32 v19, v64, v4
	s_waitcnt vmcnt(5)
	v_fmac_f32_e32 v14, v45, v1
	s_clause 0x3
	global_load_b128 v[61:64], v[95:96], off
	global_load_b128 v[85:88], v[97:98], off
	;; [unrolled: 1-line block ×4, first 2 shown]
	v_dual_fmac_f32 v17, v65, v1 :: v_dual_fmac_f32 v16, v54, v2
	v_dual_fmac_f32 v15, v69, v1 :: v_dual_fmac_f32 v14, v46, v2
	s_delay_alu instid0(VALU_DEP_2) | instskip(NEXT) | instid1(VALU_DEP_2)
	v_dual_fmac_f32 v17, v66, v2 :: v_dual_fmac_f32 v16, v55, v3
	v_dual_fmac_f32 v15, v70, v2 :: v_dual_fmac_f32 v14, v47, v3
	s_delay_alu instid0(VALU_DEP_2) | instskip(NEXT) | instid1(VALU_DEP_2)
	v_dual_fmac_f32 v17, v67, v3 :: v_dual_fmac_f32 v16, v56, v4
	v_dual_fmac_f32 v15, v71, v3 :: v_dual_fmac_f32 v14, v48, v4
	s_waitcnt vmcnt(7)
	v_fmac_f32_e32 v12, v57, v1
	v_fmac_f32_e32 v13, v73, v1
	s_waitcnt vmcnt(5)
	v_fmac_f32_e32 v10, v49, v1
	v_fmac_f32_e32 v11, v77, v1
	v_dual_fmac_f32 v17, v68, v4 :: v_dual_fmac_f32 v12, v58, v2
	v_fmac_f32_e32 v13, v74, v2
	s_delay_alu instid0(VALU_DEP_4) | instskip(NEXT) | instid1(VALU_DEP_4)
	v_fmac_f32_e32 v10, v50, v2
	v_fmac_f32_e32 v11, v78, v2
	s_delay_alu instid0(VALU_DEP_4) | instskip(NEXT) | instid1(VALU_DEP_4)
	v_dual_fmac_f32 v15, v72, v4 :: v_dual_fmac_f32 v12, v59, v3
	v_fmac_f32_e32 v13, v75, v3
	s_delay_alu instid0(VALU_DEP_4) | instskip(NEXT) | instid1(VALU_DEP_3)
	v_fmac_f32_e32 v10, v51, v3
	v_dual_fmac_f32 v11, v79, v3 :: v_dual_fmac_f32 v12, v60, v4
	s_delay_alu instid0(VALU_DEP_3) | instskip(NEXT) | instid1(VALU_DEP_3)
	v_fmac_f32_e32 v13, v76, v4
	v_fmac_f32_e32 v10, v52, v4
	s_waitcnt vmcnt(3)
	s_delay_alu instid0(VALU_DEP_3)
	v_dual_fmac_f32 v11, v80, v4 :: v_dual_fmac_f32 v8, v61, v1
	v_fmac_f32_e32 v9, v81, v1
	s_waitcnt vmcnt(1)
	v_fmac_f32_e32 v6, v41, v1
	v_fmac_f32_e32 v7, v85, v1
	s_waitcnt vmcnt(0)
	v_dual_fmac_f32 v5, v89, v1 :: v_dual_fmac_f32 v8, v62, v2
	v_fmac_f32_e32 v9, v82, v2
	v_fmac_f32_e32 v6, v42, v2
	;; [unrolled: 1-line block ×3, first 2 shown]
	s_delay_alu instid0(VALU_DEP_4) | instskip(NEXT) | instid1(VALU_DEP_4)
	v_dual_fmac_f32 v5, v90, v2 :: v_dual_fmac_f32 v8, v63, v3
	v_fmac_f32_e32 v9, v83, v3
	s_delay_alu instid0(VALU_DEP_4) | instskip(NEXT) | instid1(VALU_DEP_4)
	v_fmac_f32_e32 v6, v43, v3
	v_fmac_f32_e32 v7, v87, v3
	s_delay_alu instid0(VALU_DEP_4) | instskip(NEXT) | instid1(VALU_DEP_4)
	v_dual_fmac_f32 v5, v91, v3 :: v_dual_fmac_f32 v8, v64, v4
	v_fmac_f32_e32 v9, v84, v4
	s_delay_alu instid0(VALU_DEP_4) | instskip(NEXT) | instid1(VALU_DEP_4)
	v_fmac_f32_e32 v6, v44, v4
	v_fmac_f32_e32 v7, v88, v4
	s_delay_alu instid0(VALU_DEP_4)
	v_fmac_f32_e32 v5, v92, v4
	s_cbranch_scc0 .LBB29_1
; %bb.2:
	v_mbcnt_lo_u32_b32 v35, -1, 0
	v_lshrrev_b32_e32 v38, 5, v0
	s_delay_alu instid0(VALU_DEP_2) | instskip(SKIP_2) | instid1(VALU_DEP_3)
	v_xor_b32_e32 v1, 16, v35
	v_xor_b32_e32 v2, 8, v35
	;; [unrolled: 1-line block ×3, first 2 shown]
	v_cmp_gt_i32_e32 vcc_lo, 32, v1
	v_cndmask_b32_e32 v1, v35, v1, vcc_lo
	s_delay_alu instid0(VALU_DEP_4) | instskip(SKIP_1) | instid1(VALU_DEP_1)
	v_cmp_gt_i32_e32 vcc_lo, 32, v2
	v_cndmask_b32_e32 v2, v35, v2, vcc_lo
	v_lshlrev_b32_e32 v2, 2, v2
	s_delay_alu instid0(VALU_DEP_4)
	v_lshlrev_b32_e32 v1, 2, v1
	ds_bpermute_b32 v3, v1, v34
	s_waitcnt lgkmcnt(0)
	v_add_f32_e32 v4, v34, v3
	v_xor_b32_e32 v3, 4, v35
	ds_bpermute_b32 v34, v2, v4
	v_cmp_gt_i32_e32 vcc_lo, 32, v3
	s_waitcnt lgkmcnt(0)
	v_dual_cndmask_b32 v3, v35, v3 :: v_dual_add_f32 v34, v4, v34
	s_delay_alu instid0(VALU_DEP_1)
	v_lshlrev_b32_e32 v3, 2, v3
	v_xor_b32_e32 v4, 2, v35
	ds_bpermute_b32 v36, v3, v34
	v_cmp_gt_i32_e32 vcc_lo, 32, v4
	v_cndmask_b32_e32 v4, v35, v4, vcc_lo
	v_cmp_gt_i32_e32 vcc_lo, 32, v37
	v_cndmask_b32_e32 v35, v35, v37, vcc_lo
	s_delay_alu instid0(VALU_DEP_1) | instskip(NEXT) | instid1(VALU_DEP_4)
	v_lshlrev_b32_e32 v35, 2, v35
	v_lshlrev_b32_e32 v4, 2, v4
	s_waitcnt lgkmcnt(0)
	v_add_f32_e32 v34, v34, v36
	ds_bpermute_b32 v36, v4, v34
	s_waitcnt lgkmcnt(0)
	v_add_f32_e32 v36, v34, v36
	v_and_b32_e32 v34, 31, v0
	ds_bpermute_b32 v37, v35, v36
	v_cmp_eq_u32_e32 vcc_lo, 0, v34
	v_lshlrev_b32_e32 v34, 2, v38
	s_and_saveexec_b32 s0, vcc_lo
	s_cbranch_execz .LBB29_4
; %bb.3:
	s_waitcnt lgkmcnt(0)
	v_add_f32_e32 v36, v36, v37
	ds_store_b32 v34, v36
.LBB29_4:
	s_or_b32 exec_lo, exec_lo, s0
	ds_bpermute_b32 v36, v1, v33
	s_waitcnt lgkmcnt(0)
	v_add_f32_e32 v33, v33, v36
	ds_bpermute_b32 v36, v2, v33
	s_waitcnt lgkmcnt(0)
	v_add_f32_e32 v33, v33, v36
	ds_bpermute_b32 v36, v3, v33
	s_waitcnt lgkmcnt(0)
	v_add_f32_e32 v33, v33, v36
	ds_bpermute_b32 v36, v4, v33
	s_waitcnt lgkmcnt(0)
	v_add_f32_e32 v33, v33, v36
	ds_bpermute_b32 v36, v35, v33
	s_and_saveexec_b32 s0, vcc_lo
	s_cbranch_execz .LBB29_6
; %bb.5:
	s_waitcnt lgkmcnt(0)
	v_add_f32_e32 v33, v33, v36
	ds_store_b32 v34, v33 offset:16
.LBB29_6:
	s_or_b32 exec_lo, exec_lo, s0
	ds_bpermute_b32 v33, v1, v32
	s_waitcnt lgkmcnt(0)
	v_add_f32_e32 v32, v32, v33
	ds_bpermute_b32 v33, v2, v32
	s_waitcnt lgkmcnt(0)
	v_add_f32_e32 v32, v32, v33
	ds_bpermute_b32 v33, v3, v32
	s_waitcnt lgkmcnt(0)
	v_add_f32_e32 v32, v32, v33
	ds_bpermute_b32 v33, v4, v32
	s_waitcnt lgkmcnt(0)
	v_add_f32_e32 v32, v32, v33
	ds_bpermute_b32 v33, v35, v32
	s_and_saveexec_b32 s0, vcc_lo
	s_cbranch_execz .LBB29_8
; %bb.7:
	s_waitcnt lgkmcnt(0)
	v_add_f32_e32 v32, v32, v33
	ds_store_b32 v34, v32 offset:32
.LBB29_8:
	;; [unrolled: 21-line block ×29, first 2 shown]
	s_or_b32 exec_lo, exec_lo, s0
	s_waitcnt lgkmcnt(0)
	s_barrier
	buffer_gl0_inv
	s_mov_b32 s0, exec_lo
	v_cmpx_eq_u32_e32 0, v0
	s_cbranch_execz .LBB29_64
; %bb.63:
	v_mov_b32_e32 v40, 0
	s_ashr_i32 s3, s2, 31
	ds_load_b128 v[0:3], v40
	ds_load_b128 v[4:7], v40 offset:16
	ds_load_b128 v[8:11], v40 offset:32
	;; [unrolled: 1-line block ×7, first 2 shown]
	s_lshl_b64 s[0:1], s[2:3], 2
	s_delay_alu instid0(SALU_CYCLE_1)
	s_add_u32 s0, s4, s0
	s_addc_u32 s1, s5, s1
	s_waitcnt lgkmcnt(4)
	v_add_f32_e32 v12, 0, v12
	v_add_f32_e32 v0, 0, v0
	s_waitcnt lgkmcnt(2)
	v_add_f32_e32 v20, 0, v20
	v_add_f32_e32 v4, 0, v4
	;; [unrolled: 3-line block ×3, first 2 shown]
	s_delay_alu instid0(VALU_DEP_3)
	v_add_f32_e32 v1, v4, v5
	ds_load_b128 v[32:35], v40 offset:128
	ds_load_b128 v[36:39], v40 offset:144
	v_add_f32_e32 v5, v12, v13
	v_add_f32_e32 v12, v24, v25
	;; [unrolled: 1-line block ×4, first 2 shown]
	s_delay_alu instid0(VALU_DEP_4) | instskip(NEXT) | instid1(VALU_DEP_2)
	v_add_f32_e32 v5, v5, v14
	v_add_f32_e32 v25, v6, v7
	s_delay_alu instid0(VALU_DEP_2) | instskip(SKIP_1) | instid1(VALU_DEP_1)
	v_dual_add_f32 v42, v5, v15 :: v_dual_add_f32 v5, v12, v26
	s_waitcnt lgkmcnt(2)
	v_dual_add_f32 v28, 0, v28 :: v_dual_add_f32 v27, v5, v27
	s_waitcnt lgkmcnt(1)
	s_delay_alu instid0(VALU_DEP_1) | instskip(SKIP_3) | instid1(VALU_DEP_3)
	v_dual_add_f32 v6, v28, v29 :: v_dual_add_f32 v7, 0, v32
	v_add_f32_e32 v0, v0, v2
	s_waitcnt lgkmcnt(0)
	v_add_f32_e32 v14, 0, v36
	v_dual_add_f32 v12, v6, v30 :: v_dual_add_f32 v13, v7, v33
	s_delay_alu instid0(VALU_DEP_3)
	v_add_f32_e32 v24, v0, v3
	ds_load_b128 v[0:3], v40 offset:160
	v_add_f32_e32 v29, v12, v31
	v_add_f32_e32 v31, v14, v37
	;; [unrolled: 1-line block ×3, first 2 shown]
	v_dual_add_f32 v30, v13, v34 :: v_dual_mov_b32 v37, 0x2000
	s_delay_alu instid0(VALU_DEP_1) | instskip(SKIP_2) | instid1(VALU_DEP_1)
	v_add_f32_e32 v36, v30, v35
	s_waitcnt lgkmcnt(0)
	v_add_f32_e32 v0, 0, v0
	v_dual_add_f32 v0, v0, v1 :: v_dual_add_f32 v1, v31, v38
	v_add_f32_e32 v4, v4, v10
	v_add_f32_e32 v16, 0, v16
	s_delay_alu instid0(VALU_DEP_3) | instskip(NEXT) | instid1(VALU_DEP_4)
	v_add_f32_e32 v0, v0, v2
	v_add_f32_e32 v38, v1, v39
	s_delay_alu instid0(VALU_DEP_4) | instskip(NEXT) | instid1(VALU_DEP_4)
	v_add_f32_e32 v41, v4, v11
	v_add_f32_e32 v8, v16, v17
	s_delay_alu instid0(VALU_DEP_4) | instskip(NEXT) | instid1(VALU_DEP_2)
	v_add_f32_e32 v39, v0, v3
	v_add_f32_e32 v8, v8, v18
	s_delay_alu instid0(VALU_DEP_1) | instskip(SKIP_1) | instid1(VALU_DEP_1)
	v_add_f32_e32 v43, v8, v19
	v_add_f32_e32 v9, v20, v21
	;; [unrolled: 1-line block ×3, first 2 shown]
	s_delay_alu instid0(VALU_DEP_1)
	v_add_f32_e32 v28, v4, v23
	ds_load_b128 v[4:7], v40 offset:176
	ds_load_b128 v[8:11], v40 offset:192
	;; [unrolled: 1-line block ×5, first 2 shown]
	s_waitcnt lgkmcnt(4)
	v_add_f32_e32 v4, 0, v4
	s_waitcnt lgkmcnt(3)
	v_add_f32_e32 v8, 0, v8
	s_delay_alu instid0(VALU_DEP_2) | instskip(NEXT) | instid1(VALU_DEP_2)
	v_add_f32_e32 v4, v4, v5
	v_add_f32_e32 v5, v8, v9
	s_waitcnt lgkmcnt(0)
	v_dual_add_f32 v9, 0, v20 :: v_dual_mov_b32 v26, 0x1000
	s_clause 0x7
	global_store_b32 v40, v24, s[0:1]
	global_store_b32 v40, v25, s[0:1] offset:1024
	global_store_b32 v40, v41, s[0:1] offset:2048
	;; [unrolled: 1-line block ×3, first 2 shown]
	global_store_b32 v26, v43, s[0:1]
	global_store_b32 v26, v28, s[0:1] offset:1024
	global_store_b32 v26, v27, s[0:1] offset:2048
	;; [unrolled: 1-line block ×3, first 2 shown]
	ds_load_b128 v[24:27], v40 offset:256
	ds_load_b128 v[0:3], v40 offset:272
	v_add_f32_e32 v4, v4, v6
	v_dual_add_f32 v5, v5, v10 :: v_dual_add_f32 v6, 0, v12
	v_add_f32_e32 v8, 0, v16
	ds_load_b128 v[28:31], v40 offset:288
	ds_load_b128 v[32:35], v40 offset:304
	v_add_f32_e32 v20, v4, v7
	v_dual_add_f32 v41, v5, v11 :: v_dual_add_f32 v6, v6, v13
	v_add_f32_e32 v4, v8, v17
	v_add_f32_e32 v5, v9, v21
	s_delay_alu instid0(VALU_DEP_3) | instskip(NEXT) | instid1(VALU_DEP_3)
	v_dual_mov_b32 v21, 0x3000 :: v_dual_add_f32 v6, v6, v14
	v_add_f32_e32 v4, v4, v18
	s_delay_alu instid0(VALU_DEP_2) | instskip(SKIP_1) | instid1(VALU_DEP_2)
	v_dual_add_f32 v5, v5, v22 :: v_dual_add_f32 v22, v6, v15
	s_waitcnt lgkmcnt(3)
	v_dual_add_f32 v7, 0, v24 :: v_dual_add_f32 v24, v4, v19
	s_waitcnt lgkmcnt(2)
	s_delay_alu instid0(VALU_DEP_2) | instskip(NEXT) | instid1(VALU_DEP_2)
	v_dual_add_f32 v23, v5, v23 :: v_dual_add_f32 v0, 0, v0
	v_add_f32_e32 v8, v7, v25
	ds_load_b128 v[4:7], v40 offset:320
	s_waitcnt lgkmcnt(2)
	v_dual_add_f32 v0, v0, v1 :: v_dual_add_f32 v1, 0, v28
	v_add_f32_e32 v25, v8, v26
	ds_load_b128 v[8:11], v40 offset:336
	ds_load_b128 v[12:15], v40 offset:352
	;; [unrolled: 1-line block ×3, first 2 shown]
	s_waitcnt lgkmcnt(4)
	v_add_f32_e32 v26, 0, v32
	v_dual_add_f32 v0, v0, v2 :: v_dual_add_f32 v1, v1, v29
	s_clause 0x7
	global_store_b32 v37, v36, s[0:1]
	global_store_b32 v37, v38, s[0:1] offset:1024
	global_store_b32 v37, v39, s[0:1] offset:2048
	;; [unrolled: 1-line block ×3, first 2 shown]
	global_store_b32 v21, v41, s[0:1]
	global_store_b32 v21, v22, s[0:1] offset:1024
	global_store_b32 v21, v24, s[0:1] offset:2048
	;; [unrolled: 1-line block ×3, first 2 shown]
	ds_load_b128 v[20:23], v40 offset:384
	v_add_f32_e32 v2, v26, v33
	v_dual_add_f32 v38, v0, v3 :: v_dual_add_f32 v1, v1, v30
	v_dual_add_f32 v36, v25, v27 :: v_dual_mov_b32 v37, 0x4000
	s_delay_alu instid0(VALU_DEP_2)
	v_dual_add_f32 v2, v2, v34 :: v_dual_add_f32 v39, v1, v31
	s_waitcnt lgkmcnt(4)
	v_add_f32_e32 v4, 0, v4
	s_waitcnt lgkmcnt(3)
	v_add_f32_e32 v1, 0, v8
	s_waitcnt lgkmcnt(2)
	s_delay_alu instid0(VALU_DEP_2) | instskip(SKIP_3) | instid1(VALU_DEP_3)
	v_dual_add_f32 v3, 0, v12 :: v_dual_add_f32 v0, v4, v5
	v_add_f32_e32 v8, v2, v35
	s_waitcnt lgkmcnt(1)
	v_dual_add_f32 v2, 0, v16 :: v_dual_add_f32 v1, v1, v9
	v_dual_add_f32 v3, v3, v13 :: v_dual_add_f32 v0, v0, v6
	v_mov_b32_e32 v12, 0x5000
	s_delay_alu instid0(VALU_DEP_3) | instskip(NEXT) | instid1(VALU_DEP_4)
	v_add_f32_e32 v4, v2, v17
	v_add_f32_e32 v10, v1, v10
	s_delay_alu instid0(VALU_DEP_4)
	v_add_f32_e32 v13, v3, v14
	v_add_f32_e32 v9, v0, v7
	ds_load_b128 v[0:3], v40 offset:400
	v_add_f32_e32 v16, v4, v18
	ds_load_b128 v[4:7], v40 offset:416
	ds_load_b128 v[24:27], v40 offset:432
	ds_load_b128 v[28:31], v40 offset:448
	ds_load_b128 v[32:35], v40 offset:464
	s_waitcnt lgkmcnt(5)
	v_add_f32_e32 v14, 0, v20
	v_add_f32_e32 v10, v10, v11
	v_add_f32_e32 v11, v13, v15
	v_add_f32_e32 v13, v16, v19
	s_clause 0x7
	global_store_b32 v37, v36, s[0:1]
	global_store_b32 v37, v38, s[0:1] offset:1024
	global_store_b32 v37, v39, s[0:1] offset:2048
	;; [unrolled: 1-line block ×3, first 2 shown]
	global_store_b32 v12, v9, s[0:1]
	global_store_b32 v12, v10, s[0:1] offset:1024
	global_store_b32 v12, v11, s[0:1] offset:2048
	;; [unrolled: 1-line block ×3, first 2 shown]
	v_dual_add_f32 v14, v14, v21 :: v_dual_mov_b32 v9, 0x6000
	s_delay_alu instid0(VALU_DEP_1) | instskip(NEXT) | instid1(VALU_DEP_1)
	v_add_f32_e32 v14, v14, v22
	v_add_f32_e32 v8, v14, v23
	s_waitcnt lgkmcnt(4)
	v_add_f32_e32 v0, 0, v0
	s_waitcnt lgkmcnt(3)
	;; [unrolled: 2-line block ×4, first 2 shown]
	v_dual_add_f32 v11, 0, v28 :: v_dual_add_f32 v0, v0, v1
	s_waitcnt lgkmcnt(0)
	v_dual_add_f32 v1, 0, v32 :: v_dual_add_f32 v4, v4, v5
	v_add_f32_e32 v5, v10, v25
	s_delay_alu instid0(VALU_DEP_3) | instskip(NEXT) | instid1(VALU_DEP_3)
	v_add_f32_e32 v10, v11, v29
	v_dual_add_f32 v0, v0, v2 :: v_dual_add_f32 v1, v1, v33
	s_delay_alu instid0(VALU_DEP_4) | instskip(NEXT) | instid1(VALU_DEP_4)
	v_add_f32_e32 v2, v4, v6
	v_add_f32_e32 v4, v5, v26
	s_delay_alu instid0(VALU_DEP_3) | instskip(NEXT) | instid1(VALU_DEP_3)
	v_dual_add_f32 v5, v10, v30 :: v_dual_add_f32 v0, v0, v3
	v_dual_add_f32 v1, v1, v34 :: v_dual_add_f32 v2, v2, v7
	s_delay_alu instid0(VALU_DEP_3) | instskip(NEXT) | instid1(VALU_DEP_3)
	v_add_f32_e32 v3, v4, v27
	v_dual_add_f32 v4, v5, v31 :: v_dual_mov_b32 v5, 0x7000
	s_delay_alu instid0(VALU_DEP_3)
	v_add_f32_e32 v1, v1, v35
	s_clause 0x5
	global_store_b32 v9, v8, s[0:1]
	global_store_b32 v9, v0, s[0:1] offset:1024
	global_store_b32 v9, v2, s[0:1] offset:2048
	;; [unrolled: 1-line block ×3, first 2 shown]
	global_store_b32 v5, v4, s[0:1]
	global_store_b32 v5, v1, s[0:1] offset:1024
.LBB29_64:
	s_nop 0
	s_sendmsg sendmsg(MSG_DEALLOC_VGPRS)
	s_endpgm
	.section	.rodata,"a",@progbits
	.p2align	6, 0x0
	.amdhsa_kernel _Z23fp32_router_gemm_kernelIfLi128ELi30ELi256ELi3072EEvPfPKT_PKf
		.amdhsa_group_segment_fixed_size 480
		.amdhsa_private_segment_fixed_size 0
		.amdhsa_kernarg_size 24
		.amdhsa_user_sgpr_count 15
		.amdhsa_user_sgpr_dispatch_ptr 0
		.amdhsa_user_sgpr_queue_ptr 0
		.amdhsa_user_sgpr_kernarg_segment_ptr 1
		.amdhsa_user_sgpr_dispatch_id 0
		.amdhsa_user_sgpr_private_segment_size 0
		.amdhsa_wavefront_size32 1
		.amdhsa_uses_dynamic_stack 0
		.amdhsa_enable_private_segment 0
		.amdhsa_system_sgpr_workgroup_id_x 1
		.amdhsa_system_sgpr_workgroup_id_y 0
		.amdhsa_system_sgpr_workgroup_id_z 0
		.amdhsa_system_sgpr_workgroup_info 0
		.amdhsa_system_vgpr_workitem_id 0
		.amdhsa_next_free_vgpr 103
		.amdhsa_next_free_sgpr 16
		.amdhsa_reserve_vcc 1
		.amdhsa_float_round_mode_32 0
		.amdhsa_float_round_mode_16_64 0
		.amdhsa_float_denorm_mode_32 3
		.amdhsa_float_denorm_mode_16_64 3
		.amdhsa_dx10_clamp 1
		.amdhsa_ieee_mode 1
		.amdhsa_fp16_overflow 0
		.amdhsa_workgroup_processor_mode 1
		.amdhsa_memory_ordered 1
		.amdhsa_forward_progress 0
		.amdhsa_shared_vgpr_count 0
		.amdhsa_exception_fp_ieee_invalid_op 0
		.amdhsa_exception_fp_denorm_src 0
		.amdhsa_exception_fp_ieee_div_zero 0
		.amdhsa_exception_fp_ieee_overflow 0
		.amdhsa_exception_fp_ieee_underflow 0
		.amdhsa_exception_fp_ieee_inexact 0
		.amdhsa_exception_int_div_zero 0
	.end_amdhsa_kernel
	.section	.text._Z23fp32_router_gemm_kernelIfLi128ELi30ELi256ELi3072EEvPfPKT_PKf,"axG",@progbits,_Z23fp32_router_gemm_kernelIfLi128ELi30ELi256ELi3072EEvPfPKT_PKf,comdat
.Lfunc_end29:
	.size	_Z23fp32_router_gemm_kernelIfLi128ELi30ELi256ELi3072EEvPfPKT_PKf, .Lfunc_end29-_Z23fp32_router_gemm_kernelIfLi128ELi30ELi256ELi3072EEvPfPKT_PKf
                                        ; -- End function
	.section	.AMDGPU.csdata,"",@progbits
; Kernel info:
; codeLenInByte = 6180
; NumSgprs: 18
; NumVgprs: 103
; ScratchSize: 0
; MemoryBound: 0
; FloatMode: 240
; IeeeMode: 1
; LDSByteSize: 480 bytes/workgroup (compile time only)
; SGPRBlocks: 2
; VGPRBlocks: 12
; NumSGPRsForWavesPerEU: 18
; NumVGPRsForWavesPerEU: 103
; Occupancy: 12
; WaveLimiterHint : 1
; COMPUTE_PGM_RSRC2:SCRATCH_EN: 0
; COMPUTE_PGM_RSRC2:USER_SGPR: 15
; COMPUTE_PGM_RSRC2:TRAP_HANDLER: 0
; COMPUTE_PGM_RSRC2:TGID_X_EN: 1
; COMPUTE_PGM_RSRC2:TGID_Y_EN: 0
; COMPUTE_PGM_RSRC2:TGID_Z_EN: 0
; COMPUTE_PGM_RSRC2:TIDIG_COMP_CNT: 0
	.section	.text._Z23fp32_router_gemm_kernelIfLi128ELi31ELi256ELi3072EEvPfPKT_PKf,"axG",@progbits,_Z23fp32_router_gemm_kernelIfLi128ELi31ELi256ELi3072EEvPfPKT_PKf,comdat
	.protected	_Z23fp32_router_gemm_kernelIfLi128ELi31ELi256ELi3072EEvPfPKT_PKf ; -- Begin function _Z23fp32_router_gemm_kernelIfLi128ELi31ELi256ELi3072EEvPfPKT_PKf
	.globl	_Z23fp32_router_gemm_kernelIfLi128ELi31ELi256ELi3072EEvPfPKT_PKf
	.p2align	8
	.type	_Z23fp32_router_gemm_kernelIfLi128ELi31ELi256ELi3072EEvPfPKT_PKf,@function
_Z23fp32_router_gemm_kernelIfLi128ELi31ELi256ELi3072EEvPfPKT_PKf: ; @_Z23fp32_router_gemm_kernelIfLi128ELi31ELi256ELi3072EEvPfPKT_PKf
; %bb.0:
	s_clause 0x1
	s_load_b128 s[4:7], s[0:1], 0x0
	s_load_b64 s[0:1], s[0:1], 0x10
	v_dual_mov_b32 v35, 0 :: v_dual_lshlrev_b32 v36, 2, v0
	s_mul_i32 s8, s15, 0xc00
	v_dual_mov_b32 v34, 0 :: v_dual_mov_b32 v33, 0
	s_ashr_i32 s9, s8, 31
	s_delay_alu instid0(VALU_DEP_2)
	v_or_b32_e32 v37, 0x200, v36
	v_or_b32_e32 v38, 0x400, v36
	v_or_b32_e32 v39, 0x600, v36
	v_or_b32_e32 v40, 0x800, v36
	v_or_b32_e32 v41, 0xa00, v36
	s_lshl_b64 s[8:9], s[8:9], 2
	v_dual_mov_b32 v32, 0 :: v_dual_mov_b32 v31, 0
	v_dual_mov_b32 v30, 0 :: v_dual_mov_b32 v29, 0
	;; [unrolled: 1-line block ×14, first 2 shown]
	s_waitcnt lgkmcnt(0)
	s_add_u32 s0, s0, s8
	s_mov_b32 s2, s15
	s_addc_u32 s1, s1, s9
	s_mov_b64 s[8:9], 0
.LBB30_1:                               ; =>This Inner Loop Header: Depth=1
	s_delay_alu instid0(SALU_CYCLE_1)
	s_cmp_eq_u32 s8, 1
	s_cselect_b32 vcc_lo, -1, 0
	s_cmp_eq_u32 s8, 2
	v_cndmask_b32_e32 v1, v36, v37, vcc_lo
	s_cselect_b32 vcc_lo, -1, 0
	s_cmp_eq_u32 s8, 3
	s_delay_alu instid0(VALU_DEP_1) | instskip(SKIP_2) | instid1(VALU_DEP_1)
	v_cndmask_b32_e32 v1, v1, v38, vcc_lo
	s_cselect_b32 vcc_lo, -1, 0
	s_cmp_eq_u32 s8, 4
	v_cndmask_b32_e32 v1, v1, v39, vcc_lo
	s_cselect_b32 vcc_lo, -1, 0
	s_cmp_eq_u32 s8, 5
	s_delay_alu instid0(VALU_DEP_1)
	v_cndmask_b32_e32 v1, v1, v40, vcc_lo
	s_cselect_b32 vcc_lo, -1, 0
	s_add_u32 s8, s8, 1
	s_addc_u32 s9, s9, 0
	s_cmp_eq_u32 s8, 6
	v_cndmask_b32_e32 v1, v1, v41, vcc_lo
	s_delay_alu instid0(VALU_DEP_1)
	v_lshlrev_b32_e32 v46, 2, v1
	s_clause 0x1
	global_load_b128 v[1:4], v46, s[0:1]
	global_load_b128 v[42:45], v46, s[6:7]
	s_waitcnt vmcnt(0)
	v_fmac_f32_e32 v35, v42, v1
	s_delay_alu instid0(VALU_DEP_1) | instskip(SKIP_1) | instid1(VALU_DEP_1)
	v_fmac_f32_e32 v35, v43, v2
	v_add_co_u32 v104, s3, s6, v46
	v_add_co_ci_u32_e64 v105, null, s7, 0, s3
	s_delay_alu instid0(VALU_DEP_3) | instskip(NEXT) | instid1(VALU_DEP_3)
	v_fmac_f32_e32 v35, v44, v3
	v_add_co_u32 v46, vcc_lo, 0x3000, v104
	s_delay_alu instid0(VALU_DEP_3)
	v_add_co_ci_u32_e32 v47, vcc_lo, 0, v105, vcc_lo
	v_add_co_u32 v48, vcc_lo, 0x6000, v104
	v_add_co_ci_u32_e32 v49, vcc_lo, 0, v105, vcc_lo
	v_fmac_f32_e32 v35, v45, v4
	s_clause 0x1
	global_load_b128 v[42:45], v[46:47], off
	global_load_b128 v[46:49], v[48:49], off
	v_add_co_u32 v50, vcc_lo, 0x9000, v104
	v_add_co_ci_u32_e32 v51, vcc_lo, 0, v105, vcc_lo
	v_add_co_u32 v52, vcc_lo, 0xc000, v104
	v_add_co_ci_u32_e32 v53, vcc_lo, 0, v105, vcc_lo
	;; [unrolled: 2-line block ×28, first 2 shown]
	s_waitcnt vmcnt(1)
	v_fmac_f32_e32 v34, v42, v1
	s_waitcnt vmcnt(0)
	s_delay_alu instid0(VALU_DEP_1) | instskip(NEXT) | instid1(VALU_DEP_1)
	v_dual_fmac_f32 v33, v46, v1 :: v_dual_fmac_f32 v34, v43, v2
	v_dual_fmac_f32 v33, v47, v2 :: v_dual_fmac_f32 v34, v44, v3
	s_delay_alu instid0(VALU_DEP_1) | instskip(NEXT) | instid1(VALU_DEP_1)
	v_dual_fmac_f32 v33, v48, v3 :: v_dual_fmac_f32 v34, v45, v4
	v_fmac_f32_e32 v33, v49, v4
	s_clause 0x1
	global_load_b128 v[42:45], v[50:51], off
	global_load_b128 v[46:49], v[52:53], off
	s_waitcnt vmcnt(1)
	v_fmac_f32_e32 v32, v42, v1
	s_waitcnt vmcnt(0)
	s_delay_alu instid0(VALU_DEP_1) | instskip(NEXT) | instid1(VALU_DEP_1)
	v_dual_fmac_f32 v31, v46, v1 :: v_dual_fmac_f32 v32, v43, v2
	v_dual_fmac_f32 v31, v47, v2 :: v_dual_fmac_f32 v32, v44, v3
	s_delay_alu instid0(VALU_DEP_1) | instskip(NEXT) | instid1(VALU_DEP_1)
	v_dual_fmac_f32 v31, v48, v3 :: v_dual_fmac_f32 v32, v45, v4
	v_fmac_f32_e32 v31, v49, v4
	s_clause 0x1
	global_load_b128 v[42:45], v[54:55], off
	global_load_b128 v[46:49], v[56:57], off
	;; [unrolled: 12-line block ×3, first 2 shown]
	s_waitcnt vmcnt(1)
	v_fmac_f32_e32 v28, v42, v1
	s_waitcnt vmcnt(0)
	s_delay_alu instid0(VALU_DEP_1) | instskip(NEXT) | instid1(VALU_DEP_1)
	v_dual_fmac_f32 v27, v46, v1 :: v_dual_fmac_f32 v28, v43, v2
	v_dual_fmac_f32 v27, v47, v2 :: v_dual_fmac_f32 v28, v44, v3
	s_delay_alu instid0(VALU_DEP_1)
	v_dual_fmac_f32 v27, v48, v3 :: v_dual_fmac_f32 v28, v45, v4
	global_load_b128 v[42:45], v[62:63], off
	v_fmac_f32_e32 v27, v49, v4
	s_clause 0x1
	global_load_b128 v[46:49], v[64:65], off
	global_load_b128 v[50:53], v[66:67], off
	s_waitcnt vmcnt(2)
	v_fmac_f32_e32 v26, v42, v1
	s_waitcnt vmcnt(0)
	v_fmac_f32_e32 v24, v50, v1
	s_delay_alu instid0(VALU_DEP_2) | instskip(NEXT) | instid1(VALU_DEP_2)
	v_fmac_f32_e32 v26, v43, v2
	v_fmac_f32_e32 v24, v51, v2
	s_delay_alu instid0(VALU_DEP_2) | instskip(NEXT) | instid1(VALU_DEP_2)
	v_fmac_f32_e32 v26, v44, v3
	v_fmac_f32_e32 v24, v52, v3
	s_delay_alu instid0(VALU_DEP_2)
	v_fmac_f32_e32 v26, v45, v4
	s_clause 0x1
	global_load_b128 v[42:45], v[68:69], off
	global_load_b128 v[54:57], v[70:71], off
	v_fmac_f32_e32 v24, v53, v4
	s_waitcnt vmcnt(0)
	v_fmac_f32_e32 v22, v54, v1
	s_delay_alu instid0(VALU_DEP_1) | instskip(NEXT) | instid1(VALU_DEP_1)
	v_dual_fmac_f32 v25, v46, v1 :: v_dual_fmac_f32 v22, v55, v2
	v_dual_fmac_f32 v25, v47, v2 :: v_dual_fmac_f32 v22, v56, v3
	s_delay_alu instid0(VALU_DEP_1) | instskip(NEXT) | instid1(VALU_DEP_1)
	v_dual_fmac_f32 v25, v48, v3 :: v_dual_fmac_f32 v22, v57, v4
	v_fmac_f32_e32 v25, v49, v4
	s_clause 0x3
	global_load_b128 v[46:49], v[72:73], off
	global_load_b128 v[58:61], v[74:75], off
	;; [unrolled: 1-line block ×4, first 2 shown]
	s_waitcnt vmcnt(2)
	v_fmac_f32_e32 v20, v58, v1
	v_fmac_f32_e32 v23, v42, v1
	s_waitcnt vmcnt(0)
	v_fmac_f32_e32 v18, v62, v1
	s_delay_alu instid0(VALU_DEP_3) | instskip(NEXT) | instid1(VALU_DEP_3)
	v_dual_fmac_f32 v21, v46, v1 :: v_dual_fmac_f32 v20, v59, v2
	v_fmac_f32_e32 v23, v43, v2
	s_delay_alu instid0(VALU_DEP_3) | instskip(NEXT) | instid1(VALU_DEP_3)
	v_fmac_f32_e32 v18, v63, v2
	v_fmac_f32_e32 v21, v47, v2
	s_delay_alu instid0(VALU_DEP_4) | instskip(NEXT) | instid1(VALU_DEP_4)
	v_dual_fmac_f32 v19, v50, v1 :: v_dual_fmac_f32 v20, v60, v3
	v_fmac_f32_e32 v23, v44, v3
	s_delay_alu instid0(VALU_DEP_4) | instskip(NEXT) | instid1(VALU_DEP_3)
	v_fmac_f32_e32 v18, v64, v3
	v_dual_fmac_f32 v21, v48, v3 :: v_dual_fmac_f32 v20, v61, v4
	s_delay_alu instid0(VALU_DEP_3)
	v_fmac_f32_e32 v23, v45, v4
	s_clause 0x3
	global_load_b128 v[42:45], v[80:81], off
	global_load_b128 v[66:69], v[82:83], off
	;; [unrolled: 1-line block ×4, first 2 shown]
	v_dual_fmac_f32 v19, v51, v2 :: v_dual_fmac_f32 v18, v65, v4
	v_fmac_f32_e32 v21, v49, v4
	s_clause 0x3
	global_load_b128 v[46:49], v[88:89], off
	global_load_b128 v[74:77], v[90:91], off
	;; [unrolled: 1-line block ×4, first 2 shown]
	s_waitcnt vmcnt(6)
	v_fmac_f32_e32 v16, v66, v1
	s_waitcnt vmcnt(4)
	v_dual_fmac_f32 v14, v70, v1 :: v_dual_fmac_f32 v19, v52, v3
	s_delay_alu instid0(VALU_DEP_2) | instskip(SKIP_1) | instid1(VALU_DEP_2)
	v_dual_fmac_f32 v17, v42, v1 :: v_dual_fmac_f32 v16, v67, v2
	s_waitcnt vmcnt(2)
	v_dual_fmac_f32 v12, v74, v1 :: v_dual_fmac_f32 v19, v53, v4
	s_waitcnt vmcnt(0)
	v_fmac_f32_e32 v10, v78, v1
	s_clause 0x3
	global_load_b128 v[50:53], v[96:97], off
	global_load_b128 v[82:85], v[98:99], off
	;; [unrolled: 1-line block ×4, first 2 shown]
	v_fmac_f32_e32 v17, v43, v2
	v_dual_fmac_f32 v15, v54, v1 :: v_dual_fmac_f32 v12, v75, v2
	v_dual_fmac_f32 v13, v46, v1 :: v_dual_fmac_f32 v10, v79, v2
	s_delay_alu instid0(VALU_DEP_2) | instskip(NEXT) | instid1(VALU_DEP_2)
	v_dual_fmac_f32 v16, v68, v3 :: v_dual_fmac_f32 v15, v55, v2
	v_dual_fmac_f32 v12, v76, v3 :: v_dual_fmac_f32 v13, v47, v2
	s_delay_alu instid0(VALU_DEP_3) | instskip(NEXT) | instid1(VALU_DEP_3)
	v_fmac_f32_e32 v10, v80, v3
	v_dual_fmac_f32 v16, v69, v4 :: v_dual_fmac_f32 v15, v56, v3
	s_delay_alu instid0(VALU_DEP_3) | instskip(NEXT) | instid1(VALU_DEP_3)
	v_dual_fmac_f32 v12, v77, v4 :: v_dual_fmac_f32 v13, v48, v3
	v_fmac_f32_e32 v10, v81, v4
	s_delay_alu instid0(VALU_DEP_3) | instskip(NEXT) | instid1(VALU_DEP_1)
	v_dual_fmac_f32 v14, v71, v2 :: v_dual_fmac_f32 v15, v57, v4
	v_dual_fmac_f32 v13, v49, v4 :: v_dual_fmac_f32 v14, v72, v3
	s_delay_alu instid0(VALU_DEP_1)
	v_fmac_f32_e32 v14, v73, v4
	s_waitcnt vmcnt(2)
	v_dual_fmac_f32 v8, v82, v1 :: v_dual_fmac_f32 v17, v44, v3
	s_waitcnt vmcnt(0)
	v_fmac_f32_e32 v6, v86, v1
	v_fmac_f32_e32 v11, v58, v1
	;; [unrolled: 1-line block ×5, first 2 shown]
	global_load_b128 v[42:45], v[104:105], off
	v_fmac_f32_e32 v8, v83, v2
	v_fmac_f32_e32 v11, v59, v2
	;; [unrolled: 1-line block ×4, first 2 shown]
	s_delay_alu instid0(VALU_DEP_4) | instskip(NEXT) | instid1(VALU_DEP_4)
	v_dual_fmac_f32 v9, v51, v2 :: v_dual_fmac_f32 v8, v84, v3
	v_fmac_f32_e32 v11, v60, v3
	s_delay_alu instid0(VALU_DEP_4) | instskip(NEXT) | instid1(VALU_DEP_4)
	v_fmac_f32_e32 v7, v64, v3
	v_fmac_f32_e32 v6, v88, v3
	s_delay_alu instid0(VALU_DEP_4) | instskip(NEXT) | instid1(VALU_DEP_4)
	v_dual_fmac_f32 v9, v52, v3 :: v_dual_fmac_f32 v8, v85, v4
	v_fmac_f32_e32 v11, v61, v4
	s_delay_alu instid0(VALU_DEP_4) | instskip(NEXT) | instid1(VALU_DEP_4)
	v_fmac_f32_e32 v7, v65, v4
	v_fmac_f32_e32 v6, v89, v4
	s_delay_alu instid0(VALU_DEP_4) | instskip(SKIP_2) | instid1(VALU_DEP_1)
	v_fmac_f32_e32 v9, v53, v4
	s_waitcnt vmcnt(0)
	v_fmac_f32_e32 v5, v42, v1
	v_fmac_f32_e32 v5, v43, v2
	s_delay_alu instid0(VALU_DEP_1) | instskip(NEXT) | instid1(VALU_DEP_1)
	v_fmac_f32_e32 v5, v44, v3
	v_fmac_f32_e32 v5, v45, v4
	s_cbranch_scc0 .LBB30_1
; %bb.2:
	v_mbcnt_lo_u32_b32 v36, -1, 0
	v_lshrrev_b32_e32 v39, 5, v0
	s_delay_alu instid0(VALU_DEP_2) | instskip(SKIP_2) | instid1(VALU_DEP_3)
	v_xor_b32_e32 v1, 16, v36
	v_xor_b32_e32 v2, 8, v36
	;; [unrolled: 1-line block ×3, first 2 shown]
	v_cmp_gt_i32_e32 vcc_lo, 32, v1
	v_cndmask_b32_e32 v1, v36, v1, vcc_lo
	s_delay_alu instid0(VALU_DEP_4) | instskip(SKIP_1) | instid1(VALU_DEP_1)
	v_cmp_gt_i32_e32 vcc_lo, 32, v2
	v_cndmask_b32_e32 v2, v36, v2, vcc_lo
	v_lshlrev_b32_e32 v2, 2, v2
	s_delay_alu instid0(VALU_DEP_4)
	v_lshlrev_b32_e32 v1, 2, v1
	ds_bpermute_b32 v3, v1, v35
	s_waitcnt lgkmcnt(0)
	v_add_f32_e32 v4, v35, v3
	v_xor_b32_e32 v3, 4, v36
	ds_bpermute_b32 v35, v2, v4
	v_cmp_gt_i32_e32 vcc_lo, 32, v3
	v_cndmask_b32_e32 v3, v36, v3, vcc_lo
	s_waitcnt lgkmcnt(0)
	v_add_f32_e32 v35, v4, v35
	v_xor_b32_e32 v4, 2, v36
	s_delay_alu instid0(VALU_DEP_1) | instskip(SKIP_2) | instid1(VALU_DEP_2)
	v_cmp_gt_i32_e32 vcc_lo, 32, v4
	v_cndmask_b32_e32 v4, v36, v4, vcc_lo
	v_cmp_gt_i32_e32 vcc_lo, 32, v38
	v_lshlrev_b32_e32 v4, 2, v4
	v_dual_cndmask_b32 v36, v36, v38 :: v_dual_lshlrev_b32 v3, 2, v3
	s_delay_alu instid0(VALU_DEP_1)
	v_lshlrev_b32_e32 v36, 2, v36
	ds_bpermute_b32 v37, v3, v35
	s_waitcnt lgkmcnt(0)
	v_add_f32_e32 v35, v35, v37
	ds_bpermute_b32 v37, v4, v35
	s_waitcnt lgkmcnt(0)
	v_add_f32_e32 v37, v35, v37
	v_and_b32_e32 v35, 31, v0
	ds_bpermute_b32 v38, v36, v37
	v_cmp_eq_u32_e32 vcc_lo, 0, v35
	v_lshlrev_b32_e32 v35, 2, v39
	s_and_saveexec_b32 s0, vcc_lo
	s_cbranch_execz .LBB30_4
; %bb.3:
	s_waitcnt lgkmcnt(0)
	v_add_f32_e32 v37, v37, v38
	ds_store_b32 v35, v37
.LBB30_4:
	s_or_b32 exec_lo, exec_lo, s0
	ds_bpermute_b32 v37, v1, v34
	s_waitcnt lgkmcnt(0)
	v_add_f32_e32 v34, v34, v37
	ds_bpermute_b32 v37, v2, v34
	s_waitcnt lgkmcnt(0)
	v_add_f32_e32 v34, v34, v37
	ds_bpermute_b32 v37, v3, v34
	s_waitcnt lgkmcnt(0)
	v_add_f32_e32 v34, v34, v37
	ds_bpermute_b32 v37, v4, v34
	s_waitcnt lgkmcnt(0)
	v_add_f32_e32 v34, v34, v37
	ds_bpermute_b32 v37, v36, v34
	s_and_saveexec_b32 s0, vcc_lo
	s_cbranch_execz .LBB30_6
; %bb.5:
	s_waitcnt lgkmcnt(0)
	v_add_f32_e32 v34, v34, v37
	ds_store_b32 v35, v34 offset:16
.LBB30_6:
	s_or_b32 exec_lo, exec_lo, s0
	ds_bpermute_b32 v34, v1, v33
	s_waitcnt lgkmcnt(0)
	v_add_f32_e32 v33, v33, v34
	ds_bpermute_b32 v34, v2, v33
	s_waitcnt lgkmcnt(0)
	v_add_f32_e32 v33, v33, v34
	ds_bpermute_b32 v34, v3, v33
	s_waitcnt lgkmcnt(0)
	v_add_f32_e32 v33, v33, v34
	ds_bpermute_b32 v34, v4, v33
	s_waitcnt lgkmcnt(0)
	v_add_f32_e32 v33, v33, v34
	ds_bpermute_b32 v34, v36, v33
	s_and_saveexec_b32 s0, vcc_lo
	s_cbranch_execz .LBB30_8
; %bb.7:
	s_waitcnt lgkmcnt(0)
	v_add_f32_e32 v33, v33, v34
	ds_store_b32 v35, v33 offset:32
.LBB30_8:
	s_or_b32 exec_lo, exec_lo, s0
	ds_bpermute_b32 v33, v1, v32
	s_waitcnt lgkmcnt(0)
	v_add_f32_e32 v32, v32, v33
	ds_bpermute_b32 v33, v2, v32
	s_waitcnt lgkmcnt(0)
	v_add_f32_e32 v32, v32, v33
	ds_bpermute_b32 v33, v3, v32
	s_waitcnt lgkmcnt(0)
	v_add_f32_e32 v32, v32, v33
	ds_bpermute_b32 v33, v4, v32
	s_waitcnt lgkmcnt(0)
	v_add_f32_e32 v32, v32, v33
	ds_bpermute_b32 v33, v36, v32
	s_and_saveexec_b32 s0, vcc_lo
	s_cbranch_execz .LBB30_10
; %bb.9:
	s_waitcnt lgkmcnt(0)
	v_add_f32_e32 v32, v32, v33
	ds_store_b32 v35, v32 offset:48
.LBB30_10:
	s_or_b32 exec_lo, exec_lo, s0
	ds_bpermute_b32 v32, v1, v31
	s_waitcnt lgkmcnt(0)
	v_add_f32_e32 v31, v31, v32
	ds_bpermute_b32 v32, v2, v31
	s_waitcnt lgkmcnt(0)
	v_add_f32_e32 v31, v31, v32
	ds_bpermute_b32 v32, v3, v31
	s_waitcnt lgkmcnt(0)
	v_add_f32_e32 v31, v31, v32
	ds_bpermute_b32 v32, v4, v31
	s_waitcnt lgkmcnt(0)
	v_add_f32_e32 v31, v31, v32
	ds_bpermute_b32 v32, v36, v31
	s_and_saveexec_b32 s0, vcc_lo
	s_cbranch_execz .LBB30_12
; %bb.11:
	s_waitcnt lgkmcnt(0)
	v_add_f32_e32 v31, v31, v32
	ds_store_b32 v35, v31 offset:64
.LBB30_12:
	s_or_b32 exec_lo, exec_lo, s0
	ds_bpermute_b32 v31, v1, v30
	s_waitcnt lgkmcnt(0)
	v_add_f32_e32 v30, v30, v31
	ds_bpermute_b32 v31, v2, v30
	s_waitcnt lgkmcnt(0)
	v_add_f32_e32 v30, v30, v31
	ds_bpermute_b32 v31, v3, v30
	s_waitcnt lgkmcnt(0)
	v_add_f32_e32 v30, v30, v31
	ds_bpermute_b32 v31, v4, v30
	s_waitcnt lgkmcnt(0)
	v_add_f32_e32 v30, v30, v31
	ds_bpermute_b32 v31, v36, v30
	s_and_saveexec_b32 s0, vcc_lo
	s_cbranch_execz .LBB30_14
; %bb.13:
	s_waitcnt lgkmcnt(0)
	v_add_f32_e32 v30, v30, v31
	ds_store_b32 v35, v30 offset:80
.LBB30_14:
	s_or_b32 exec_lo, exec_lo, s0
	ds_bpermute_b32 v30, v1, v29
	s_waitcnt lgkmcnt(0)
	v_add_f32_e32 v29, v29, v30
	ds_bpermute_b32 v30, v2, v29
	s_waitcnt lgkmcnt(0)
	v_add_f32_e32 v29, v29, v30
	ds_bpermute_b32 v30, v3, v29
	s_waitcnt lgkmcnt(0)
	v_add_f32_e32 v29, v29, v30
	ds_bpermute_b32 v30, v4, v29
	s_waitcnt lgkmcnt(0)
	v_add_f32_e32 v29, v29, v30
	ds_bpermute_b32 v30, v36, v29
	s_and_saveexec_b32 s0, vcc_lo
	s_cbranch_execz .LBB30_16
; %bb.15:
	s_waitcnt lgkmcnt(0)
	v_add_f32_e32 v29, v29, v30
	ds_store_b32 v35, v29 offset:96
.LBB30_16:
	s_or_b32 exec_lo, exec_lo, s0
	ds_bpermute_b32 v29, v1, v28
	s_waitcnt lgkmcnt(0)
	v_add_f32_e32 v28, v28, v29
	ds_bpermute_b32 v29, v2, v28
	s_waitcnt lgkmcnt(0)
	v_add_f32_e32 v28, v28, v29
	ds_bpermute_b32 v29, v3, v28
	s_waitcnt lgkmcnt(0)
	v_add_f32_e32 v28, v28, v29
	ds_bpermute_b32 v29, v4, v28
	s_waitcnt lgkmcnt(0)
	v_add_f32_e32 v28, v28, v29
	ds_bpermute_b32 v29, v36, v28
	s_and_saveexec_b32 s0, vcc_lo
	s_cbranch_execz .LBB30_18
; %bb.17:
	s_waitcnt lgkmcnt(0)
	v_add_f32_e32 v28, v28, v29
	ds_store_b32 v35, v28 offset:112
.LBB30_18:
	s_or_b32 exec_lo, exec_lo, s0
	ds_bpermute_b32 v28, v1, v27
	s_waitcnt lgkmcnt(0)
	v_add_f32_e32 v27, v27, v28
	ds_bpermute_b32 v28, v2, v27
	s_waitcnt lgkmcnt(0)
	v_add_f32_e32 v27, v27, v28
	ds_bpermute_b32 v28, v3, v27
	s_waitcnt lgkmcnt(0)
	v_add_f32_e32 v27, v27, v28
	ds_bpermute_b32 v28, v4, v27
	s_waitcnt lgkmcnt(0)
	v_add_f32_e32 v27, v27, v28
	ds_bpermute_b32 v28, v36, v27
	s_and_saveexec_b32 s0, vcc_lo
	s_cbranch_execz .LBB30_20
; %bb.19:
	s_waitcnt lgkmcnt(0)
	v_add_f32_e32 v27, v27, v28
	ds_store_b32 v35, v27 offset:128
.LBB30_20:
	s_or_b32 exec_lo, exec_lo, s0
	ds_bpermute_b32 v27, v1, v26
	s_waitcnt lgkmcnt(0)
	v_add_f32_e32 v26, v26, v27
	ds_bpermute_b32 v27, v2, v26
	s_waitcnt lgkmcnt(0)
	v_add_f32_e32 v26, v26, v27
	ds_bpermute_b32 v27, v3, v26
	s_waitcnt lgkmcnt(0)
	v_add_f32_e32 v26, v26, v27
	ds_bpermute_b32 v27, v4, v26
	s_waitcnt lgkmcnt(0)
	v_add_f32_e32 v26, v26, v27
	ds_bpermute_b32 v27, v36, v26
	s_and_saveexec_b32 s0, vcc_lo
	s_cbranch_execz .LBB30_22
; %bb.21:
	s_waitcnt lgkmcnt(0)
	v_add_f32_e32 v26, v26, v27
	ds_store_b32 v35, v26 offset:144
.LBB30_22:
	s_or_b32 exec_lo, exec_lo, s0
	ds_bpermute_b32 v26, v1, v25
	s_waitcnt lgkmcnt(0)
	v_add_f32_e32 v25, v25, v26
	ds_bpermute_b32 v26, v2, v25
	s_waitcnt lgkmcnt(0)
	v_add_f32_e32 v25, v25, v26
	ds_bpermute_b32 v26, v3, v25
	s_waitcnt lgkmcnt(0)
	v_add_f32_e32 v25, v25, v26
	ds_bpermute_b32 v26, v4, v25
	s_waitcnt lgkmcnt(0)
	v_add_f32_e32 v25, v25, v26
	ds_bpermute_b32 v26, v36, v25
	s_and_saveexec_b32 s0, vcc_lo
	s_cbranch_execz .LBB30_24
; %bb.23:
	s_waitcnt lgkmcnt(0)
	v_add_f32_e32 v25, v25, v26
	ds_store_b32 v35, v25 offset:160
.LBB30_24:
	s_or_b32 exec_lo, exec_lo, s0
	ds_bpermute_b32 v25, v1, v24
	s_waitcnt lgkmcnt(0)
	v_add_f32_e32 v24, v24, v25
	ds_bpermute_b32 v25, v2, v24
	s_waitcnt lgkmcnt(0)
	v_add_f32_e32 v24, v24, v25
	ds_bpermute_b32 v25, v3, v24
	s_waitcnt lgkmcnt(0)
	v_add_f32_e32 v24, v24, v25
	ds_bpermute_b32 v25, v4, v24
	s_waitcnt lgkmcnt(0)
	v_add_f32_e32 v24, v24, v25
	ds_bpermute_b32 v25, v36, v24
	s_and_saveexec_b32 s0, vcc_lo
	s_cbranch_execz .LBB30_26
; %bb.25:
	s_waitcnt lgkmcnt(0)
	v_add_f32_e32 v24, v24, v25
	ds_store_b32 v35, v24 offset:176
.LBB30_26:
	s_or_b32 exec_lo, exec_lo, s0
	ds_bpermute_b32 v24, v1, v23
	s_waitcnt lgkmcnt(0)
	v_add_f32_e32 v23, v23, v24
	ds_bpermute_b32 v24, v2, v23
	s_waitcnt lgkmcnt(0)
	v_add_f32_e32 v23, v23, v24
	ds_bpermute_b32 v24, v3, v23
	s_waitcnt lgkmcnt(0)
	v_add_f32_e32 v23, v23, v24
	ds_bpermute_b32 v24, v4, v23
	s_waitcnt lgkmcnt(0)
	v_add_f32_e32 v23, v23, v24
	ds_bpermute_b32 v24, v36, v23
	s_and_saveexec_b32 s0, vcc_lo
	s_cbranch_execz .LBB30_28
; %bb.27:
	s_waitcnt lgkmcnt(0)
	v_add_f32_e32 v23, v23, v24
	ds_store_b32 v35, v23 offset:192
.LBB30_28:
	s_or_b32 exec_lo, exec_lo, s0
	ds_bpermute_b32 v23, v1, v22
	s_waitcnt lgkmcnt(0)
	v_add_f32_e32 v22, v22, v23
	ds_bpermute_b32 v23, v2, v22
	s_waitcnt lgkmcnt(0)
	v_add_f32_e32 v22, v22, v23
	ds_bpermute_b32 v23, v3, v22
	s_waitcnt lgkmcnt(0)
	v_add_f32_e32 v22, v22, v23
	ds_bpermute_b32 v23, v4, v22
	s_waitcnt lgkmcnt(0)
	v_add_f32_e32 v22, v22, v23
	ds_bpermute_b32 v23, v36, v22
	s_and_saveexec_b32 s0, vcc_lo
	s_cbranch_execz .LBB30_30
; %bb.29:
	s_waitcnt lgkmcnt(0)
	v_add_f32_e32 v22, v22, v23
	ds_store_b32 v35, v22 offset:208
.LBB30_30:
	s_or_b32 exec_lo, exec_lo, s0
	ds_bpermute_b32 v22, v1, v21
	s_waitcnt lgkmcnt(0)
	v_add_f32_e32 v21, v21, v22
	ds_bpermute_b32 v22, v2, v21
	s_waitcnt lgkmcnt(0)
	v_add_f32_e32 v21, v21, v22
	ds_bpermute_b32 v22, v3, v21
	s_waitcnt lgkmcnt(0)
	v_add_f32_e32 v21, v21, v22
	ds_bpermute_b32 v22, v4, v21
	s_waitcnt lgkmcnt(0)
	v_add_f32_e32 v21, v21, v22
	ds_bpermute_b32 v22, v36, v21
	s_and_saveexec_b32 s0, vcc_lo
	s_cbranch_execz .LBB30_32
; %bb.31:
	s_waitcnt lgkmcnt(0)
	v_add_f32_e32 v21, v21, v22
	ds_store_b32 v35, v21 offset:224
.LBB30_32:
	s_or_b32 exec_lo, exec_lo, s0
	ds_bpermute_b32 v21, v1, v20
	s_waitcnt lgkmcnt(0)
	v_add_f32_e32 v20, v20, v21
	ds_bpermute_b32 v21, v2, v20
	s_waitcnt lgkmcnt(0)
	v_add_f32_e32 v20, v20, v21
	ds_bpermute_b32 v21, v3, v20
	s_waitcnt lgkmcnt(0)
	v_add_f32_e32 v20, v20, v21
	ds_bpermute_b32 v21, v4, v20
	s_waitcnt lgkmcnt(0)
	v_add_f32_e32 v20, v20, v21
	ds_bpermute_b32 v21, v36, v20
	s_and_saveexec_b32 s0, vcc_lo
	s_cbranch_execz .LBB30_34
; %bb.33:
	s_waitcnt lgkmcnt(0)
	v_add_f32_e32 v20, v20, v21
	ds_store_b32 v35, v20 offset:240
.LBB30_34:
	s_or_b32 exec_lo, exec_lo, s0
	ds_bpermute_b32 v20, v1, v19
	s_waitcnt lgkmcnt(0)
	v_add_f32_e32 v19, v19, v20
	ds_bpermute_b32 v20, v2, v19
	s_waitcnt lgkmcnt(0)
	v_add_f32_e32 v19, v19, v20
	ds_bpermute_b32 v20, v3, v19
	s_waitcnt lgkmcnt(0)
	v_add_f32_e32 v19, v19, v20
	ds_bpermute_b32 v20, v4, v19
	s_waitcnt lgkmcnt(0)
	v_add_f32_e32 v19, v19, v20
	ds_bpermute_b32 v20, v36, v19
	s_and_saveexec_b32 s0, vcc_lo
	s_cbranch_execz .LBB30_36
; %bb.35:
	s_waitcnt lgkmcnt(0)
	v_add_f32_e32 v19, v19, v20
	ds_store_b32 v35, v19 offset:256
.LBB30_36:
	s_or_b32 exec_lo, exec_lo, s0
	ds_bpermute_b32 v19, v1, v18
	s_waitcnt lgkmcnt(0)
	v_add_f32_e32 v18, v18, v19
	ds_bpermute_b32 v19, v2, v18
	s_waitcnt lgkmcnt(0)
	v_add_f32_e32 v18, v18, v19
	ds_bpermute_b32 v19, v3, v18
	s_waitcnt lgkmcnt(0)
	v_add_f32_e32 v18, v18, v19
	ds_bpermute_b32 v19, v4, v18
	s_waitcnt lgkmcnt(0)
	v_add_f32_e32 v18, v18, v19
	ds_bpermute_b32 v19, v36, v18
	s_and_saveexec_b32 s0, vcc_lo
	s_cbranch_execz .LBB30_38
; %bb.37:
	s_waitcnt lgkmcnt(0)
	v_add_f32_e32 v18, v18, v19
	ds_store_b32 v35, v18 offset:272
.LBB30_38:
	s_or_b32 exec_lo, exec_lo, s0
	ds_bpermute_b32 v18, v1, v17
	s_waitcnt lgkmcnt(0)
	v_add_f32_e32 v17, v17, v18
	ds_bpermute_b32 v18, v2, v17
	s_waitcnt lgkmcnt(0)
	v_add_f32_e32 v17, v17, v18
	ds_bpermute_b32 v18, v3, v17
	s_waitcnt lgkmcnt(0)
	v_add_f32_e32 v17, v17, v18
	ds_bpermute_b32 v18, v4, v17
	s_waitcnt lgkmcnt(0)
	v_add_f32_e32 v17, v17, v18
	ds_bpermute_b32 v18, v36, v17
	s_and_saveexec_b32 s0, vcc_lo
	s_cbranch_execz .LBB30_40
; %bb.39:
	s_waitcnt lgkmcnt(0)
	v_add_f32_e32 v17, v17, v18
	ds_store_b32 v35, v17 offset:288
.LBB30_40:
	s_or_b32 exec_lo, exec_lo, s0
	ds_bpermute_b32 v17, v1, v16
	s_waitcnt lgkmcnt(0)
	v_add_f32_e32 v16, v16, v17
	ds_bpermute_b32 v17, v2, v16
	s_waitcnt lgkmcnt(0)
	v_add_f32_e32 v16, v16, v17
	ds_bpermute_b32 v17, v3, v16
	s_waitcnt lgkmcnt(0)
	v_add_f32_e32 v16, v16, v17
	ds_bpermute_b32 v17, v4, v16
	s_waitcnt lgkmcnt(0)
	v_add_f32_e32 v16, v16, v17
	ds_bpermute_b32 v17, v36, v16
	s_and_saveexec_b32 s0, vcc_lo
	s_cbranch_execz .LBB30_42
; %bb.41:
	s_waitcnt lgkmcnt(0)
	v_add_f32_e32 v16, v16, v17
	ds_store_b32 v35, v16 offset:304
.LBB30_42:
	s_or_b32 exec_lo, exec_lo, s0
	ds_bpermute_b32 v16, v1, v15
	s_waitcnt lgkmcnt(0)
	v_add_f32_e32 v15, v15, v16
	ds_bpermute_b32 v16, v2, v15
	s_waitcnt lgkmcnt(0)
	v_add_f32_e32 v15, v15, v16
	ds_bpermute_b32 v16, v3, v15
	s_waitcnt lgkmcnt(0)
	v_add_f32_e32 v15, v15, v16
	ds_bpermute_b32 v16, v4, v15
	s_waitcnt lgkmcnt(0)
	v_add_f32_e32 v15, v15, v16
	ds_bpermute_b32 v16, v36, v15
	s_and_saveexec_b32 s0, vcc_lo
	s_cbranch_execz .LBB30_44
; %bb.43:
	s_waitcnt lgkmcnt(0)
	v_add_f32_e32 v15, v15, v16
	ds_store_b32 v35, v15 offset:320
.LBB30_44:
	s_or_b32 exec_lo, exec_lo, s0
	ds_bpermute_b32 v15, v1, v14
	s_waitcnt lgkmcnt(0)
	v_add_f32_e32 v14, v14, v15
	ds_bpermute_b32 v15, v2, v14
	s_waitcnt lgkmcnt(0)
	v_add_f32_e32 v14, v14, v15
	ds_bpermute_b32 v15, v3, v14
	s_waitcnt lgkmcnt(0)
	v_add_f32_e32 v14, v14, v15
	ds_bpermute_b32 v15, v4, v14
	s_waitcnt lgkmcnt(0)
	v_add_f32_e32 v14, v14, v15
	ds_bpermute_b32 v15, v36, v14
	s_and_saveexec_b32 s0, vcc_lo
	s_cbranch_execz .LBB30_46
; %bb.45:
	s_waitcnt lgkmcnt(0)
	v_add_f32_e32 v14, v14, v15
	ds_store_b32 v35, v14 offset:336
.LBB30_46:
	s_or_b32 exec_lo, exec_lo, s0
	ds_bpermute_b32 v14, v1, v13
	s_waitcnt lgkmcnt(0)
	v_add_f32_e32 v13, v13, v14
	ds_bpermute_b32 v14, v2, v13
	s_waitcnt lgkmcnt(0)
	v_add_f32_e32 v13, v13, v14
	ds_bpermute_b32 v14, v3, v13
	s_waitcnt lgkmcnt(0)
	v_add_f32_e32 v13, v13, v14
	ds_bpermute_b32 v14, v4, v13
	s_waitcnt lgkmcnt(0)
	v_add_f32_e32 v13, v13, v14
	ds_bpermute_b32 v14, v36, v13
	s_and_saveexec_b32 s0, vcc_lo
	s_cbranch_execz .LBB30_48
; %bb.47:
	s_waitcnt lgkmcnt(0)
	v_add_f32_e32 v13, v13, v14
	ds_store_b32 v35, v13 offset:352
.LBB30_48:
	s_or_b32 exec_lo, exec_lo, s0
	ds_bpermute_b32 v13, v1, v12
	s_waitcnt lgkmcnt(0)
	v_add_f32_e32 v12, v12, v13
	ds_bpermute_b32 v13, v2, v12
	s_waitcnt lgkmcnt(0)
	v_add_f32_e32 v12, v12, v13
	ds_bpermute_b32 v13, v3, v12
	s_waitcnt lgkmcnt(0)
	v_add_f32_e32 v12, v12, v13
	ds_bpermute_b32 v13, v4, v12
	s_waitcnt lgkmcnt(0)
	v_add_f32_e32 v12, v12, v13
	ds_bpermute_b32 v13, v36, v12
	s_and_saveexec_b32 s0, vcc_lo
	s_cbranch_execz .LBB30_50
; %bb.49:
	s_waitcnt lgkmcnt(0)
	v_add_f32_e32 v12, v12, v13
	ds_store_b32 v35, v12 offset:368
.LBB30_50:
	s_or_b32 exec_lo, exec_lo, s0
	ds_bpermute_b32 v12, v1, v11
	s_waitcnt lgkmcnt(0)
	v_add_f32_e32 v11, v11, v12
	ds_bpermute_b32 v12, v2, v11
	s_waitcnt lgkmcnt(0)
	v_add_f32_e32 v11, v11, v12
	ds_bpermute_b32 v12, v3, v11
	s_waitcnt lgkmcnt(0)
	v_add_f32_e32 v11, v11, v12
	ds_bpermute_b32 v12, v4, v11
	s_waitcnt lgkmcnt(0)
	v_add_f32_e32 v11, v11, v12
	ds_bpermute_b32 v12, v36, v11
	s_and_saveexec_b32 s0, vcc_lo
	s_cbranch_execz .LBB30_52
; %bb.51:
	s_waitcnt lgkmcnt(0)
	v_add_f32_e32 v11, v11, v12
	ds_store_b32 v35, v11 offset:384
.LBB30_52:
	s_or_b32 exec_lo, exec_lo, s0
	ds_bpermute_b32 v11, v1, v10
	s_waitcnt lgkmcnt(0)
	v_add_f32_e32 v10, v10, v11
	ds_bpermute_b32 v11, v2, v10
	s_waitcnt lgkmcnt(0)
	v_add_f32_e32 v10, v10, v11
	ds_bpermute_b32 v11, v3, v10
	s_waitcnt lgkmcnt(0)
	v_add_f32_e32 v10, v10, v11
	ds_bpermute_b32 v11, v4, v10
	s_waitcnt lgkmcnt(0)
	v_add_f32_e32 v10, v10, v11
	ds_bpermute_b32 v11, v36, v10
	s_and_saveexec_b32 s0, vcc_lo
	s_cbranch_execz .LBB30_54
; %bb.53:
	s_waitcnt lgkmcnt(0)
	v_add_f32_e32 v10, v10, v11
	ds_store_b32 v35, v10 offset:400
.LBB30_54:
	s_or_b32 exec_lo, exec_lo, s0
	ds_bpermute_b32 v10, v1, v9
	s_waitcnt lgkmcnt(0)
	v_add_f32_e32 v9, v9, v10
	ds_bpermute_b32 v10, v2, v9
	s_waitcnt lgkmcnt(0)
	v_add_f32_e32 v9, v9, v10
	ds_bpermute_b32 v10, v3, v9
	s_waitcnt lgkmcnt(0)
	v_add_f32_e32 v9, v9, v10
	ds_bpermute_b32 v10, v4, v9
	s_waitcnt lgkmcnt(0)
	v_add_f32_e32 v9, v9, v10
	ds_bpermute_b32 v10, v36, v9
	s_and_saveexec_b32 s0, vcc_lo
	s_cbranch_execz .LBB30_56
; %bb.55:
	s_waitcnt lgkmcnt(0)
	v_add_f32_e32 v9, v9, v10
	ds_store_b32 v35, v9 offset:416
.LBB30_56:
	s_or_b32 exec_lo, exec_lo, s0
	ds_bpermute_b32 v9, v1, v8
	s_waitcnt lgkmcnt(0)
	v_add_f32_e32 v8, v8, v9
	ds_bpermute_b32 v9, v2, v8
	s_waitcnt lgkmcnt(0)
	v_add_f32_e32 v8, v8, v9
	ds_bpermute_b32 v9, v3, v8
	s_waitcnt lgkmcnt(0)
	v_add_f32_e32 v8, v8, v9
	ds_bpermute_b32 v9, v4, v8
	s_waitcnt lgkmcnt(0)
	v_add_f32_e32 v8, v8, v9
	ds_bpermute_b32 v9, v36, v8
	s_and_saveexec_b32 s0, vcc_lo
	s_cbranch_execz .LBB30_58
; %bb.57:
	s_waitcnt lgkmcnt(0)
	v_add_f32_e32 v8, v8, v9
	ds_store_b32 v35, v8 offset:432
.LBB30_58:
	s_or_b32 exec_lo, exec_lo, s0
	ds_bpermute_b32 v8, v1, v7
	s_waitcnt lgkmcnt(0)
	v_add_f32_e32 v7, v7, v8
	ds_bpermute_b32 v8, v2, v7
	s_waitcnt lgkmcnt(0)
	v_add_f32_e32 v7, v7, v8
	ds_bpermute_b32 v8, v3, v7
	s_waitcnt lgkmcnt(0)
	v_add_f32_e32 v7, v7, v8
	ds_bpermute_b32 v8, v4, v7
	s_waitcnt lgkmcnt(0)
	v_add_f32_e32 v7, v7, v8
	ds_bpermute_b32 v8, v36, v7
	s_and_saveexec_b32 s0, vcc_lo
	s_cbranch_execz .LBB30_60
; %bb.59:
	s_waitcnt lgkmcnt(0)
	v_add_f32_e32 v7, v7, v8
	ds_store_b32 v35, v7 offset:448
.LBB30_60:
	s_or_b32 exec_lo, exec_lo, s0
	ds_bpermute_b32 v7, v1, v6
	s_waitcnt lgkmcnt(0)
	v_add_f32_e32 v6, v6, v7
	ds_bpermute_b32 v7, v2, v6
	s_waitcnt lgkmcnt(0)
	v_add_f32_e32 v6, v6, v7
	ds_bpermute_b32 v7, v3, v6
	s_waitcnt lgkmcnt(0)
	v_add_f32_e32 v6, v6, v7
	ds_bpermute_b32 v7, v4, v6
	s_waitcnt lgkmcnt(0)
	v_add_f32_e32 v6, v6, v7
	ds_bpermute_b32 v7, v36, v6
	s_and_saveexec_b32 s0, vcc_lo
	s_cbranch_execz .LBB30_62
; %bb.61:
	s_waitcnt lgkmcnt(0)
	v_add_f32_e32 v6, v6, v7
	ds_store_b32 v35, v6 offset:464
.LBB30_62:
	s_or_b32 exec_lo, exec_lo, s0
	ds_bpermute_b32 v1, v1, v5
	s_waitcnt lgkmcnt(0)
	v_add_f32_e32 v1, v5, v1
	ds_bpermute_b32 v2, v2, v1
	s_waitcnt lgkmcnt(0)
	v_add_f32_e32 v1, v1, v2
	ds_bpermute_b32 v2, v3, v1
	s_waitcnt lgkmcnt(0)
	v_add_f32_e32 v1, v1, v2
	ds_bpermute_b32 v2, v4, v1
	s_waitcnt lgkmcnt(0)
	v_add_f32_e32 v1, v1, v2
	ds_bpermute_b32 v2, v36, v1
	s_and_saveexec_b32 s0, vcc_lo
	s_cbranch_execz .LBB30_64
; %bb.63:
	s_waitcnt lgkmcnt(0)
	v_add_f32_e32 v1, v1, v2
	ds_store_b32 v35, v1 offset:480
.LBB30_64:
	s_or_b32 exec_lo, exec_lo, s0
	s_waitcnt lgkmcnt(0)
	s_barrier
	buffer_gl0_inv
	s_mov_b32 s0, exec_lo
	v_cmpx_eq_u32_e32 0, v0
	s_cbranch_execz .LBB30_66
; %bb.65:
	v_mov_b32_e32 v40, 0
	s_ashr_i32 s3, s2, 31
	ds_load_b128 v[0:3], v40
	ds_load_b128 v[4:7], v40 offset:16
	ds_load_b128 v[8:11], v40 offset:32
	ds_load_b128 v[12:15], v40 offset:48
	ds_load_b128 v[16:19], v40 offset:64
	ds_load_b128 v[20:23], v40 offset:80
	ds_load_b128 v[24:27], v40 offset:96
	ds_load_b128 v[28:31], v40 offset:112
	s_lshl_b64 s[0:1], s[2:3], 2
	s_delay_alu instid0(SALU_CYCLE_1)
	s_add_u32 s0, s4, s0
	s_addc_u32 s1, s5, s1
	s_waitcnt lgkmcnt(4)
	v_add_f32_e32 v12, 0, v12
	v_add_f32_e32 v0, 0, v0
	s_waitcnt lgkmcnt(2)
	v_add_f32_e32 v20, 0, v20
	v_add_f32_e32 v4, 0, v4
	;; [unrolled: 3-line block ×3, first 2 shown]
	v_add_f32_e32 v0, v0, v1
	v_add_f32_e32 v1, v4, v5
	ds_load_b128 v[32:35], v40 offset:128
	ds_load_b128 v[36:39], v40 offset:144
	v_dual_add_f32 v5, v12, v13 :: v_dual_add_f32 v8, 0, v8
	s_delay_alu instid0(VALU_DEP_1) | instskip(NEXT) | instid1(VALU_DEP_1)
	v_dual_add_f32 v5, v5, v14 :: v_dual_add_f32 v4, v8, v9
	v_dual_add_f32 v42, v5, v15 :: v_dual_add_f32 v5, v28, v29
	s_waitcnt lgkmcnt(0)
	v_dual_add_f32 v12, v24, v25 :: v_dual_add_f32 v13, 0, v36
	s_delay_alu instid0(VALU_DEP_3) | instskip(NEXT) | instid1(VALU_DEP_1)
	v_add_f32_e32 v4, v4, v10
	v_dual_add_f32 v16, 0, v16 :: v_dual_add_f32 v41, v4, v11
	s_delay_alu instid0(VALU_DEP_1) | instskip(NEXT) | instid1(VALU_DEP_1)
	v_add_f32_e32 v8, v16, v17
	v_add_f32_e32 v8, v8, v18
	s_delay_alu instid0(VALU_DEP_1) | instskip(SKIP_1) | instid1(VALU_DEP_2)
	v_dual_add_f32 v43, v8, v19 :: v_dual_add_f32 v8, v5, v30
	v_dual_add_f32 v6, v1, v6 :: v_dual_add_f32 v9, v20, v21
	v_add_f32_e32 v29, v8, v31
	s_delay_alu instid0(VALU_DEP_2)
	v_add_f32_e32 v25, v6, v7
	v_dual_add_f32 v7, 0, v32 :: v_dual_add_f32 v0, v0, v2
	v_add_f32_e32 v31, v13, v37
	v_add_f32_e32 v4, v9, v22
	;; [unrolled: 1-line block ×3, first 2 shown]
	ds_load_b128 v[8:11], v40 offset:192
	v_add_f32_e32 v24, v0, v3
	ds_load_b128 v[0:3], v40 offset:160
	v_add_f32_e32 v28, v4, v23
	v_dual_add_f32 v27, v6, v27 :: v_dual_add_f32 v12, v7, v33
	ds_load_b128 v[4:7], v40 offset:176
	v_mov_b32_e32 v33, 0x2000
	v_dual_mov_b32 v37, 0x5000 :: v_dual_add_f32 v30, v12, v34
	ds_load_b128 v[12:15], v40 offset:208
	ds_load_b128 v[16:19], v40 offset:224
	;; [unrolled: 1-line block ×3, first 2 shown]
	v_add_f32_e32 v32, v30, v35
	s_waitcnt lgkmcnt(4)
	v_add_f32_e32 v0, 0, v0
	s_waitcnt lgkmcnt(3)
	s_delay_alu instid0(VALU_DEP_1) | instskip(SKIP_1) | instid1(VALU_DEP_2)
	v_dual_add_f32 v0, v0, v1 :: v_dual_add_f32 v1, 0, v4
	v_add_f32_e32 v4, 0, v8
	v_dual_add_f32 v0, v0, v2 :: v_dual_add_f32 v1, v1, v5
	s_delay_alu instid0(VALU_DEP_2) | instskip(SKIP_1) | instid1(VALU_DEP_2)
	v_add_f32_e32 v2, v4, v9
	s_waitcnt lgkmcnt(2)
	v_dual_add_f32 v4, 0, v12 :: v_dual_add_f32 v35, v0, v3
	s_delay_alu instid0(VALU_DEP_3) | instskip(NEXT) | instid1(VALU_DEP_3)
	v_add_f32_e32 v0, v1, v6
	v_add_f32_e32 v1, v2, v10
	s_delay_alu instid0(VALU_DEP_3)
	v_dual_add_f32 v3, v4, v13 :: v_dual_mov_b32 v26, 0x1000
	s_waitcnt lgkmcnt(1)
	v_add_f32_e32 v2, 0, v16
	s_waitcnt lgkmcnt(0)
	v_add_f32_e32 v4, 0, v20
	v_dual_add_f32 v36, v1, v11 :: v_dual_add_f32 v1, v3, v14
	s_clause 0x7
	global_store_b32 v40, v24, s[0:1]
	global_store_b32 v40, v25, s[0:1] offset:1024
	global_store_b32 v40, v41, s[0:1] offset:2048
	;; [unrolled: 1-line block ×3, first 2 shown]
	global_store_b32 v26, v43, s[0:1]
	global_store_b32 v26, v28, s[0:1] offset:1024
	global_store_b32 v26, v27, s[0:1] offset:2048
	;; [unrolled: 1-line block ×3, first 2 shown]
	ds_load_b128 v[24:27], v40 offset:256
	v_add_f32_e32 v28, v31, v38
	v_add_f32_e32 v20, v0, v7
	;; [unrolled: 1-line block ×3, first 2 shown]
	v_dual_add_f32 v2, v4, v21 :: v_dual_mov_b32 v21, 0x3000
	s_delay_alu instid0(VALU_DEP_4) | instskip(SKIP_3) | instid1(VALU_DEP_2)
	v_add_f32_e32 v34, v28, v39
	ds_load_b128 v[28:31], v40 offset:272
	v_add_f32_e32 v4, v0, v18
	v_add_f32_e32 v8, v2, v22
	;; [unrolled: 1-line block ×3, first 2 shown]
	ds_load_b128 v[4:7], v40 offset:304
	v_add_f32_e32 v23, v8, v23
	s_waitcnt lgkmcnt(2)
	v_dual_add_f32 v3, 0, v24 :: v_dual_add_f32 v24, v1, v15
	s_delay_alu instid0(VALU_DEP_1)
	v_add_f32_e32 v9, v3, v25
	ds_load_b128 v[0:3], v40 offset:288
	s_waitcnt lgkmcnt(2)
	v_dual_add_f32 v12, 0, v28 :: v_dual_add_f32 v25, v9, v26
	ds_load_b128 v[8:11], v40 offset:320
	v_add_f32_e32 v26, v12, v29
	ds_load_b128 v[12:15], v40 offset:336
	ds_load_b128 v[16:19], v40 offset:352
	s_waitcnt lgkmcnt(4)
	v_add_f32_e32 v4, 0, v4
	s_delay_alu instid0(VALU_DEP_1) | instskip(NEXT) | instid1(VALU_DEP_1)
	v_add_f32_e32 v4, v4, v5
	v_add_f32_e32 v4, v4, v6
	s_waitcnt lgkmcnt(3)
	v_add_f32_e32 v0, 0, v0
	s_waitcnt lgkmcnt(1)
	s_delay_alu instid0(VALU_DEP_1)
	v_dual_add_f32 v0, v0, v1 :: v_dual_add_f32 v5, 0, v12
	s_clause 0x7
	global_store_b32 v33, v32, s[0:1]
	global_store_b32 v33, v34, s[0:1] offset:1024
	global_store_b32 v33, v35, s[0:1] offset:2048
	;; [unrolled: 1-line block ×3, first 2 shown]
	global_store_b32 v21, v36, s[0:1]
	global_store_b32 v21, v24, s[0:1] offset:1024
	global_store_b32 v21, v22, s[0:1] offset:2048
	;; [unrolled: 1-line block ×3, first 2 shown]
	v_add_f32_e32 v24, v26, v30
	ds_load_b128 v[20:23], v40 offset:368
	v_dual_add_f32 v32, v25, v27 :: v_dual_add_f32 v1, 0, v8
	v_add_f32_e32 v0, v0, v2
	v_add_f32_e32 v34, v24, v31
	ds_load_b128 v[24:27], v40 offset:384
	ds_load_b128 v[28:31], v40 offset:400
	s_waitcnt lgkmcnt(3)
	v_dual_add_f32 v1, v1, v9 :: v_dual_add_f32 v2, 0, v16
	v_add_f32_e32 v5, v5, v13
	v_add_f32_e32 v35, v0, v3
	v_add_f32_e32 v36, v4, v7
	s_delay_alu instid0(VALU_DEP_4) | instskip(NEXT) | instid1(VALU_DEP_4)
	v_dual_add_f32 v0, v1, v10 :: v_dual_add_f32 v1, v2, v17
	v_dual_add_f32 v2, v5, v14 :: v_dual_mov_b32 v33, 0x4000
	s_waitcnt lgkmcnt(2)
	s_delay_alu instid0(VALU_DEP_1) | instskip(NEXT) | instid1(VALU_DEP_3)
	v_dual_add_f32 v38, v2, v15 :: v_dual_add_f32 v3, 0, v20
	v_add_f32_e32 v20, v0, v11
	v_add_f32_e32 v0, v1, v18
	s_waitcnt lgkmcnt(1)
	s_delay_alu instid0(VALU_DEP_3) | instskip(NEXT) | instid1(VALU_DEP_2)
	v_dual_add_f32 v4, v3, v21 :: v_dual_add_f32 v5, 0, v24
	v_add_f32_e32 v21, v0, v19
	ds_load_b128 v[0:3], v40 offset:416
	s_waitcnt lgkmcnt(1)
	v_add_f32_e32 v12, 0, v28
	v_add_f32_e32 v22, v4, v22
	;; [unrolled: 1-line block ×3, first 2 shown]
	ds_load_b128 v[4:7], v40 offset:432
	ds_load_b128 v[8:11], v40 offset:448
	v_add_f32_e32 v25, v12, v29
	ds_load_b128 v[12:15], v40 offset:464
	ds_load_b128 v[16:19], v40 offset:480
	v_dual_add_f32 v22, v22, v23 :: v_dual_add_f32 v23, v24, v26
	s_clause 0x7
	global_store_b32 v33, v32, s[0:1]
	global_store_b32 v33, v34, s[0:1] offset:1024
	global_store_b32 v33, v35, s[0:1] offset:2048
	;; [unrolled: 1-line block ×3, first 2 shown]
	global_store_b32 v37, v20, s[0:1]
	global_store_b32 v37, v38, s[0:1] offset:1024
	global_store_b32 v37, v21, s[0:1] offset:2048
	;; [unrolled: 1-line block ×3, first 2 shown]
	v_dual_add_f32 v24, v25, v30 :: v_dual_mov_b32 v21, 0x6000
	v_add_f32_e32 v20, v23, v27
	s_delay_alu instid0(VALU_DEP_2)
	v_add_f32_e32 v22, v24, v31
	s_waitcnt lgkmcnt(4)
	v_add_f32_e32 v0, 0, v0
	s_waitcnt lgkmcnt(3)
	;; [unrolled: 2-line block ×4, first 2 shown]
	v_dual_add_f32 v0, v0, v1 :: v_dual_add_f32 v1, 0, v12
	s_waitcnt lgkmcnt(0)
	v_add_f32_e32 v12, 0, v16
	v_add_f32_e32 v4, v4, v5
	;; [unrolled: 1-line block ×3, first 2 shown]
	v_dual_add_f32 v0, v0, v2 :: v_dual_add_f32 v1, v1, v13
	s_delay_alu instid0(VALU_DEP_4) | instskip(NEXT) | instid1(VALU_DEP_4)
	v_add_f32_e32 v2, v12, v17
	v_add_f32_e32 v4, v4, v6
	s_delay_alu instid0(VALU_DEP_3) | instskip(NEXT) | instid1(VALU_DEP_4)
	v_dual_add_f32 v5, v5, v10 :: v_dual_add_f32 v0, v0, v3
	v_add_f32_e32 v1, v1, v14
	s_delay_alu instid0(VALU_DEP_3) | instskip(NEXT) | instid1(VALU_DEP_3)
	v_dual_add_f32 v2, v2, v18 :: v_dual_add_f32 v3, v4, v7
	v_dual_add_f32 v4, v5, v11 :: v_dual_mov_b32 v5, 0x7000
	s_delay_alu instid0(VALU_DEP_3) | instskip(NEXT) | instid1(VALU_DEP_3)
	v_add_f32_e32 v1, v1, v15
	v_add_f32_e32 v2, v2, v19
	s_clause 0x6
	global_store_b32 v21, v20, s[0:1]
	global_store_b32 v21, v22, s[0:1] offset:1024
	global_store_b32 v21, v0, s[0:1] offset:2048
	;; [unrolled: 1-line block ×3, first 2 shown]
	global_store_b32 v5, v4, s[0:1]
	global_store_b32 v5, v1, s[0:1] offset:1024
	global_store_b32 v5, v2, s[0:1] offset:2048
.LBB30_66:
	s_nop 0
	s_sendmsg sendmsg(MSG_DEALLOC_VGPRS)
	s_endpgm
	.section	.rodata,"a",@progbits
	.p2align	6, 0x0
	.amdhsa_kernel _Z23fp32_router_gemm_kernelIfLi128ELi31ELi256ELi3072EEvPfPKT_PKf
		.amdhsa_group_segment_fixed_size 496
		.amdhsa_private_segment_fixed_size 0
		.amdhsa_kernarg_size 24
		.amdhsa_user_sgpr_count 15
		.amdhsa_user_sgpr_dispatch_ptr 0
		.amdhsa_user_sgpr_queue_ptr 0
		.amdhsa_user_sgpr_kernarg_segment_ptr 1
		.amdhsa_user_sgpr_dispatch_id 0
		.amdhsa_user_sgpr_private_segment_size 0
		.amdhsa_wavefront_size32 1
		.amdhsa_uses_dynamic_stack 0
		.amdhsa_enable_private_segment 0
		.amdhsa_system_sgpr_workgroup_id_x 1
		.amdhsa_system_sgpr_workgroup_id_y 0
		.amdhsa_system_sgpr_workgroup_id_z 0
		.amdhsa_system_sgpr_workgroup_info 0
		.amdhsa_system_vgpr_workitem_id 0
		.amdhsa_next_free_vgpr 106
		.amdhsa_next_free_sgpr 16
		.amdhsa_reserve_vcc 1
		.amdhsa_float_round_mode_32 0
		.amdhsa_float_round_mode_16_64 0
		.amdhsa_float_denorm_mode_32 3
		.amdhsa_float_denorm_mode_16_64 3
		.amdhsa_dx10_clamp 1
		.amdhsa_ieee_mode 1
		.amdhsa_fp16_overflow 0
		.amdhsa_workgroup_processor_mode 1
		.amdhsa_memory_ordered 1
		.amdhsa_forward_progress 0
		.amdhsa_shared_vgpr_count 0
		.amdhsa_exception_fp_ieee_invalid_op 0
		.amdhsa_exception_fp_denorm_src 0
		.amdhsa_exception_fp_ieee_div_zero 0
		.amdhsa_exception_fp_ieee_overflow 0
		.amdhsa_exception_fp_ieee_underflow 0
		.amdhsa_exception_fp_ieee_inexact 0
		.amdhsa_exception_int_div_zero 0
	.end_amdhsa_kernel
	.section	.text._Z23fp32_router_gemm_kernelIfLi128ELi31ELi256ELi3072EEvPfPKT_PKf,"axG",@progbits,_Z23fp32_router_gemm_kernelIfLi128ELi31ELi256ELi3072EEvPfPKT_PKf,comdat
.Lfunc_end30:
	.size	_Z23fp32_router_gemm_kernelIfLi128ELi31ELi256ELi3072EEvPfPKT_PKf, .Lfunc_end30-_Z23fp32_router_gemm_kernelIfLi128ELi31ELi256ELi3072EEvPfPKT_PKf
                                        ; -- End function
	.section	.AMDGPU.csdata,"",@progbits
; Kernel info:
; codeLenInByte = 6360
; NumSgprs: 18
; NumVgprs: 106
; ScratchSize: 0
; MemoryBound: 0
; FloatMode: 240
; IeeeMode: 1
; LDSByteSize: 496 bytes/workgroup (compile time only)
; SGPRBlocks: 2
; VGPRBlocks: 13
; NumSGPRsForWavesPerEU: 18
; NumVGPRsForWavesPerEU: 106
; Occupancy: 12
; WaveLimiterHint : 1
; COMPUTE_PGM_RSRC2:SCRATCH_EN: 0
; COMPUTE_PGM_RSRC2:USER_SGPR: 15
; COMPUTE_PGM_RSRC2:TRAP_HANDLER: 0
; COMPUTE_PGM_RSRC2:TGID_X_EN: 1
; COMPUTE_PGM_RSRC2:TGID_Y_EN: 0
; COMPUTE_PGM_RSRC2:TGID_Z_EN: 0
; COMPUTE_PGM_RSRC2:TIDIG_COMP_CNT: 0
	.section	.text._Z23fp32_router_gemm_kernelIfLi128ELi32ELi256ELi3072EEvPfPKT_PKf,"axG",@progbits,_Z23fp32_router_gemm_kernelIfLi128ELi32ELi256ELi3072EEvPfPKT_PKf,comdat
	.protected	_Z23fp32_router_gemm_kernelIfLi128ELi32ELi256ELi3072EEvPfPKT_PKf ; -- Begin function _Z23fp32_router_gemm_kernelIfLi128ELi32ELi256ELi3072EEvPfPKT_PKf
	.globl	_Z23fp32_router_gemm_kernelIfLi128ELi32ELi256ELi3072EEvPfPKT_PKf
	.p2align	8
	.type	_Z23fp32_router_gemm_kernelIfLi128ELi32ELi256ELi3072EEvPfPKT_PKf,@function
_Z23fp32_router_gemm_kernelIfLi128ELi32ELi256ELi3072EEvPfPKT_PKf: ; @_Z23fp32_router_gemm_kernelIfLi128ELi32ELi256ELi3072EEvPfPKT_PKf
; %bb.0:
	s_clause 0x1
	s_load_b128 s[4:7], s[0:1], 0x0
	s_load_b64 s[0:1], s[0:1], 0x10
	v_dual_mov_b32 v36, 0 :: v_dual_lshlrev_b32 v37, 2, v0
	s_mul_i32 s8, s15, 0xc00
	v_dual_mov_b32 v35, 0 :: v_dual_mov_b32 v34, 0
	s_ashr_i32 s9, s8, 31
	s_delay_alu instid0(VALU_DEP_2)
	v_or_b32_e32 v38, 0x200, v37
	v_or_b32_e32 v39, 0x400, v37
	;; [unrolled: 1-line block ×5, first 2 shown]
	s_lshl_b64 s[8:9], s[8:9], 2
	v_dual_mov_b32 v33, 0 :: v_dual_mov_b32 v32, 0
	v_dual_mov_b32 v31, 0 :: v_dual_mov_b32 v30, 0
	;; [unrolled: 1-line block ×14, first 2 shown]
	v_mov_b32_e32 v5, 0
	s_waitcnt lgkmcnt(0)
	s_add_u32 s0, s0, s8
	s_mov_b32 s2, s15
	s_addc_u32 s1, s1, s9
	s_mov_b64 s[8:9], 0
.LBB31_1:                               ; =>This Inner Loop Header: Depth=1
	s_delay_alu instid0(SALU_CYCLE_1)
	s_cmp_eq_u32 s8, 1
	s_cselect_b32 vcc_lo, -1, 0
	s_cmp_eq_u32 s8, 2
	v_cndmask_b32_e32 v1, v37, v38, vcc_lo
	s_cselect_b32 vcc_lo, -1, 0
	s_cmp_eq_u32 s8, 3
	s_delay_alu instid0(VALU_DEP_1) | instskip(SKIP_2) | instid1(VALU_DEP_1)
	v_cndmask_b32_e32 v1, v1, v39, vcc_lo
	s_cselect_b32 vcc_lo, -1, 0
	s_cmp_eq_u32 s8, 4
	v_cndmask_b32_e32 v1, v1, v40, vcc_lo
	s_cselect_b32 vcc_lo, -1, 0
	s_cmp_eq_u32 s8, 5
	s_delay_alu instid0(VALU_DEP_1)
	v_cndmask_b32_e32 v1, v1, v41, vcc_lo
	s_cselect_b32 vcc_lo, -1, 0
	s_add_u32 s8, s8, 1
	s_addc_u32 s9, s9, 0
	s_cmp_eq_u32 s8, 6
	v_cndmask_b32_e32 v1, v1, v42, vcc_lo
	s_delay_alu instid0(VALU_DEP_1)
	v_lshlrev_b32_e32 v47, 2, v1
	s_clause 0x1
	global_load_b128 v[1:4], v47, s[0:1]
	global_load_b128 v[43:46], v47, s[6:7]
	s_waitcnt vmcnt(0)
	v_fmac_f32_e32 v36, v43, v1
	s_delay_alu instid0(VALU_DEP_1) | instskip(NEXT) | instid1(VALU_DEP_1)
	v_fmac_f32_e32 v36, v44, v2
	v_fmac_f32_e32 v36, v45, v3
	v_add_co_u32 v107, s3, s6, v47
	s_delay_alu instid0(VALU_DEP_1) | instskip(NEXT) | instid1(VALU_DEP_3)
	v_add_co_ci_u32_e64 v108, null, s7, 0, s3
	v_fmac_f32_e32 v36, v46, v4
	s_delay_alu instid0(VALU_DEP_3) | instskip(NEXT) | instid1(VALU_DEP_3)
	v_add_co_u32 v47, vcc_lo, 0x3000, v107
	v_add_co_ci_u32_e32 v48, vcc_lo, 0, v108, vcc_lo
	v_add_co_u32 v49, vcc_lo, 0x6000, v107
	v_add_co_ci_u32_e32 v50, vcc_lo, 0, v108, vcc_lo
	s_clause 0x1
	global_load_b128 v[43:46], v[47:48], off
	global_load_b128 v[47:50], v[49:50], off
	v_add_co_u32 v51, vcc_lo, 0x9000, v107
	v_add_co_ci_u32_e32 v52, vcc_lo, 0, v108, vcc_lo
	v_add_co_u32 v53, vcc_lo, 0xc000, v107
	v_add_co_ci_u32_e32 v54, vcc_lo, 0, v108, vcc_lo
	;; [unrolled: 2-line block ×29, first 2 shown]
	s_waitcnt vmcnt(0)
	v_fmac_f32_e32 v34, v47, v1
	s_delay_alu instid0(VALU_DEP_1) | instskip(NEXT) | instid1(VALU_DEP_1)
	v_dual_fmac_f32 v34, v48, v2 :: v_dual_fmac_f32 v35, v43, v1
	v_dual_fmac_f32 v34, v49, v3 :: v_dual_fmac_f32 v35, v44, v2
	s_delay_alu instid0(VALU_DEP_1) | instskip(NEXT) | instid1(VALU_DEP_1)
	v_dual_fmac_f32 v34, v50, v4 :: v_dual_fmac_f32 v35, v45, v3
	v_fmac_f32_e32 v35, v46, v4
	s_clause 0x1
	global_load_b128 v[43:46], v[51:52], off
	global_load_b128 v[47:50], v[53:54], off
	s_waitcnt vmcnt(0)
	v_fmac_f32_e32 v32, v47, v1
	s_delay_alu instid0(VALU_DEP_1) | instskip(NEXT) | instid1(VALU_DEP_1)
	v_dual_fmac_f32 v32, v48, v2 :: v_dual_fmac_f32 v33, v43, v1
	v_dual_fmac_f32 v32, v49, v3 :: v_dual_fmac_f32 v33, v44, v2
	s_delay_alu instid0(VALU_DEP_1) | instskip(NEXT) | instid1(VALU_DEP_1)
	v_dual_fmac_f32 v32, v50, v4 :: v_dual_fmac_f32 v33, v45, v3
	v_fmac_f32_e32 v33, v46, v4
	s_clause 0x1
	global_load_b128 v[43:46], v[55:56], off
	global_load_b128 v[47:50], v[57:58], off
	;; [unrolled: 11-line block ×5, first 2 shown]
	global_load_b128 v[47:50], v[71:72], off
	global_load_b128 v[55:58], v[73:74], off
	s_waitcnt vmcnt(2)
	v_fmac_f32_e32 v24, v51, v1
	s_waitcnt vmcnt(0)
	v_fmac_f32_e32 v22, v55, v1
	s_delay_alu instid0(VALU_DEP_2) | instskip(NEXT) | instid1(VALU_DEP_2)
	v_dual_fmac_f32 v24, v52, v2 :: v_dual_fmac_f32 v25, v43, v1
	v_dual_fmac_f32 v22, v56, v2 :: v_dual_fmac_f32 v23, v47, v1
	s_delay_alu instid0(VALU_DEP_2) | instskip(NEXT) | instid1(VALU_DEP_2)
	v_dual_fmac_f32 v24, v53, v3 :: v_dual_fmac_f32 v25, v44, v2
	v_dual_fmac_f32 v22, v57, v3 :: v_dual_fmac_f32 v23, v48, v2
	s_delay_alu instid0(VALU_DEP_2) | instskip(NEXT) | instid1(VALU_DEP_2)
	v_dual_fmac_f32 v24, v54, v4 :: v_dual_fmac_f32 v25, v45, v3
	v_fmac_f32_e32 v22, v58, v4
	s_delay_alu instid0(VALU_DEP_2)
	v_fmac_f32_e32 v25, v46, v4
	s_clause 0x3
	global_load_b128 v[43:46], v[75:76], off
	global_load_b128 v[59:62], v[77:78], off
	;; [unrolled: 1-line block ×4, first 2 shown]
	s_waitcnt vmcnt(2)
	v_dual_fmac_f32 v23, v49, v3 :: v_dual_fmac_f32 v20, v59, v1
	s_delay_alu instid0(VALU_DEP_1)
	v_fmac_f32_e32 v23, v50, v4
	s_clause 0x3
	global_load_b128 v[47:50], v[83:84], off
	global_load_b128 v[67:70], v[85:86], off
	;; [unrolled: 1-line block ×4, first 2 shown]
	s_waitcnt vmcnt(4)
	v_fmac_f32_e32 v18, v63, v1
	v_dual_fmac_f32 v20, v60, v2 :: v_dual_fmac_f32 v21, v43, v1
	s_delay_alu instid0(VALU_DEP_2) | instskip(NEXT) | instid1(VALU_DEP_2)
	v_fmac_f32_e32 v18, v64, v2
	v_dual_fmac_f32 v20, v61, v3 :: v_dual_fmac_f32 v21, v44, v2
	s_delay_alu instid0(VALU_DEP_2) | instskip(NEXT) | instid1(VALU_DEP_2)
	v_dual_fmac_f32 v19, v51, v1 :: v_dual_fmac_f32 v18, v65, v3
	v_dual_fmac_f32 v20, v62, v4 :: v_dual_fmac_f32 v21, v45, v3
	s_delay_alu instid0(VALU_DEP_2) | instskip(NEXT) | instid1(VALU_DEP_2)
	v_dual_fmac_f32 v19, v52, v2 :: v_dual_fmac_f32 v18, v66, v4
	v_fmac_f32_e32 v21, v46, v4
	s_clause 0x3
	global_load_b128 v[43:46], v[91:92], off
	global_load_b128 v[75:78], v[93:94], off
	global_load_b128 v[59:62], v[95:96], off
	global_load_b128 v[79:82], v[97:98], off
	s_waitcnt vmcnt(6)
	v_dual_fmac_f32 v19, v53, v3 :: v_dual_fmac_f32 v16, v67, v1
	v_fmac_f32_e32 v17, v47, v1
	s_waitcnt vmcnt(4)
	s_delay_alu instid0(VALU_DEP_2)
	v_dual_fmac_f32 v19, v54, v4 :: v_dual_fmac_f32 v14, v71, v1
	s_clause 0x1
	global_load_b128 v[51:54], v[99:100], off
	global_load_b128 v[83:86], v[101:102], off
	v_fmac_f32_e32 v16, v68, v2
	v_fmac_f32_e32 v17, v48, v2
	s_clause 0x1
	global_load_b128 v[63:66], v[103:104], off
	global_load_b128 v[87:90], v[105:106], off
	v_dual_fmac_f32 v15, v55, v1 :: v_dual_fmac_f32 v14, v72, v2
	s_delay_alu instid0(VALU_DEP_1) | instskip(NEXT) | instid1(VALU_DEP_2)
	v_dual_fmac_f32 v16, v69, v3 :: v_dual_fmac_f32 v15, v56, v2
	v_fmac_f32_e32 v14, v73, v3
	s_delay_alu instid0(VALU_DEP_2) | instskip(NEXT) | instid1(VALU_DEP_2)
	v_dual_fmac_f32 v16, v70, v4 :: v_dual_fmac_f32 v15, v57, v3
	v_fmac_f32_e32 v14, v74, v4
	s_waitcnt vmcnt(6)
	v_dual_fmac_f32 v12, v75, v1 :: v_dual_fmac_f32 v17, v49, v3
	s_waitcnt vmcnt(4)
	v_fmac_f32_e32 v10, v79, v1
	v_fmac_f32_e32 v13, v43, v1
	s_delay_alu instid0(VALU_DEP_3)
	v_dual_fmac_f32 v11, v59, v1 :: v_dual_fmac_f32 v12, v76, v2
	v_fmac_f32_e32 v17, v50, v4
	global_load_b128 v[47:50], v[107:108], off
	v_fmac_f32_e32 v13, v44, v2
	v_fmac_f32_e32 v10, v80, v2
	v_dual_fmac_f32 v11, v60, v2 :: v_dual_fmac_f32 v12, v77, v3
	v_fmac_f32_e32 v15, v58, v4
	s_delay_alu instid0(VALU_DEP_4) | instskip(NEXT) | instid1(VALU_DEP_4)
	v_fmac_f32_e32 v13, v45, v3
	v_fmac_f32_e32 v10, v81, v3
	s_delay_alu instid0(VALU_DEP_4) | instskip(NEXT) | instid1(VALU_DEP_3)
	v_dual_fmac_f32 v11, v61, v3 :: v_dual_fmac_f32 v12, v78, v4
	v_fmac_f32_e32 v13, v46, v4
	s_delay_alu instid0(VALU_DEP_3) | instskip(SKIP_1) | instid1(VALU_DEP_3)
	v_fmac_f32_e32 v10, v82, v4
	s_waitcnt vmcnt(3)
	v_dual_fmac_f32 v11, v62, v4 :: v_dual_fmac_f32 v8, v83, v1
	v_fmac_f32_e32 v9, v51, v1
	s_waitcnt vmcnt(1)
	v_fmac_f32_e32 v6, v87, v1
	s_delay_alu instid0(VALU_DEP_3) | instskip(NEXT) | instid1(VALU_DEP_3)
	v_dual_fmac_f32 v7, v63, v1 :: v_dual_fmac_f32 v8, v84, v2
	v_fmac_f32_e32 v9, v52, v2
	s_delay_alu instid0(VALU_DEP_3) | instskip(NEXT) | instid1(VALU_DEP_3)
	v_fmac_f32_e32 v6, v88, v2
	v_dual_fmac_f32 v7, v64, v2 :: v_dual_fmac_f32 v8, v85, v3
	s_delay_alu instid0(VALU_DEP_3) | instskip(NEXT) | instid1(VALU_DEP_3)
	v_fmac_f32_e32 v9, v53, v3
	v_fmac_f32_e32 v6, v89, v3
	s_delay_alu instid0(VALU_DEP_3) | instskip(NEXT) | instid1(VALU_DEP_3)
	v_dual_fmac_f32 v7, v65, v3 :: v_dual_fmac_f32 v8, v86, v4
	v_fmac_f32_e32 v9, v54, v4
	s_delay_alu instid0(VALU_DEP_3) | instskip(NEXT) | instid1(VALU_DEP_3)
	v_fmac_f32_e32 v6, v90, v4
	v_fmac_f32_e32 v7, v66, v4
	s_waitcnt vmcnt(0)
	v_fmac_f32_e32 v5, v47, v1
	s_delay_alu instid0(VALU_DEP_1) | instskip(NEXT) | instid1(VALU_DEP_1)
	v_fmac_f32_e32 v5, v48, v2
	v_fmac_f32_e32 v5, v49, v3
	s_delay_alu instid0(VALU_DEP_1)
	v_fmac_f32_e32 v5, v50, v4
	s_cbranch_scc0 .LBB31_1
; %bb.2:
	v_mbcnt_lo_u32_b32 v37, -1, 0
	v_lshrrev_b32_e32 v40, 5, v0
	s_delay_alu instid0(VALU_DEP_2) | instskip(SKIP_2) | instid1(VALU_DEP_3)
	v_xor_b32_e32 v1, 16, v37
	v_xor_b32_e32 v2, 8, v37
	;; [unrolled: 1-line block ×3, first 2 shown]
	v_cmp_gt_i32_e32 vcc_lo, 32, v1
	v_cndmask_b32_e32 v1, v37, v1, vcc_lo
	s_delay_alu instid0(VALU_DEP_4) | instskip(SKIP_1) | instid1(VALU_DEP_1)
	v_cmp_gt_i32_e32 vcc_lo, 32, v2
	v_cndmask_b32_e32 v2, v37, v2, vcc_lo
	v_lshlrev_b32_e32 v2, 2, v2
	s_delay_alu instid0(VALU_DEP_4)
	v_lshlrev_b32_e32 v1, 2, v1
	ds_bpermute_b32 v3, v1, v36
	s_waitcnt lgkmcnt(0)
	v_add_f32_e32 v4, v36, v3
	v_xor_b32_e32 v3, 4, v37
	ds_bpermute_b32 v36, v2, v4
	v_cmp_gt_i32_e32 vcc_lo, 32, v3
	s_waitcnt lgkmcnt(0)
	v_dual_cndmask_b32 v3, v37, v3 :: v_dual_add_f32 v36, v4, v36
	s_delay_alu instid0(VALU_DEP_1)
	v_lshlrev_b32_e32 v3, 2, v3
	v_xor_b32_e32 v4, 2, v37
	ds_bpermute_b32 v38, v3, v36
	v_cmp_gt_i32_e32 vcc_lo, 32, v4
	v_cndmask_b32_e32 v4, v37, v4, vcc_lo
	v_cmp_gt_i32_e32 vcc_lo, 32, v39
	v_cndmask_b32_e32 v37, v37, v39, vcc_lo
	s_delay_alu instid0(VALU_DEP_1) | instskip(NEXT) | instid1(VALU_DEP_4)
	v_lshlrev_b32_e32 v37, 2, v37
	v_lshlrev_b32_e32 v4, 2, v4
	s_waitcnt lgkmcnt(0)
	v_add_f32_e32 v36, v36, v38
	ds_bpermute_b32 v38, v4, v36
	s_waitcnt lgkmcnt(0)
	v_add_f32_e32 v38, v36, v38
	v_and_b32_e32 v36, 31, v0
	ds_bpermute_b32 v39, v37, v38
	v_cmp_eq_u32_e32 vcc_lo, 0, v36
	v_lshlrev_b32_e32 v36, 2, v40
	s_and_saveexec_b32 s0, vcc_lo
	s_cbranch_execz .LBB31_4
; %bb.3:
	s_waitcnt lgkmcnt(0)
	v_add_f32_e32 v38, v38, v39
	ds_store_b32 v36, v38
.LBB31_4:
	s_or_b32 exec_lo, exec_lo, s0
	ds_bpermute_b32 v38, v1, v35
	s_waitcnt lgkmcnt(0)
	v_add_f32_e32 v35, v35, v38
	ds_bpermute_b32 v38, v2, v35
	s_waitcnt lgkmcnt(0)
	v_add_f32_e32 v35, v35, v38
	ds_bpermute_b32 v38, v3, v35
	s_waitcnt lgkmcnt(0)
	v_add_f32_e32 v35, v35, v38
	ds_bpermute_b32 v38, v4, v35
	s_waitcnt lgkmcnt(0)
	v_add_f32_e32 v35, v35, v38
	ds_bpermute_b32 v38, v37, v35
	s_and_saveexec_b32 s0, vcc_lo
	s_cbranch_execz .LBB31_6
; %bb.5:
	s_waitcnt lgkmcnt(0)
	v_add_f32_e32 v35, v35, v38
	ds_store_b32 v36, v35 offset:16
.LBB31_6:
	s_or_b32 exec_lo, exec_lo, s0
	ds_bpermute_b32 v35, v1, v34
	s_waitcnt lgkmcnt(0)
	v_add_f32_e32 v34, v34, v35
	ds_bpermute_b32 v35, v2, v34
	s_waitcnt lgkmcnt(0)
	v_add_f32_e32 v34, v34, v35
	ds_bpermute_b32 v35, v3, v34
	s_waitcnt lgkmcnt(0)
	v_add_f32_e32 v34, v34, v35
	ds_bpermute_b32 v35, v4, v34
	s_waitcnt lgkmcnt(0)
	v_add_f32_e32 v34, v34, v35
	ds_bpermute_b32 v35, v37, v34
	s_and_saveexec_b32 s0, vcc_lo
	s_cbranch_execz .LBB31_8
; %bb.7:
	s_waitcnt lgkmcnt(0)
	v_add_f32_e32 v34, v34, v35
	ds_store_b32 v36, v34 offset:32
.LBB31_8:
	;; [unrolled: 21-line block ×31, first 2 shown]
	s_or_b32 exec_lo, exec_lo, s0
	s_waitcnt lgkmcnt(0)
	s_barrier
	buffer_gl0_inv
	s_mov_b32 s0, exec_lo
	v_cmpx_eq_u32_e32 0, v0
	s_cbranch_execz .LBB31_68
; %bb.67:
	v_mov_b32_e32 v40, 0
	s_ashr_i32 s3, s2, 31
	ds_load_b128 v[0:3], v40
	ds_load_b128 v[4:7], v40 offset:16
	ds_load_b128 v[8:11], v40 offset:32
	;; [unrolled: 1-line block ×8, first 2 shown]
	s_lshl_b64 s[0:1], s[2:3], 2
	s_delay_alu instid0(SALU_CYCLE_1)
	s_add_u32 s0, s4, s0
	s_addc_u32 s1, s5, s1
	s_waitcnt lgkmcnt(5)
	v_add_f32_e32 v12, 0, v12
	v_add_f32_e32 v0, 0, v0
	s_waitcnt lgkmcnt(3)
	v_add_f32_e32 v20, 0, v20
	v_add_f32_e32 v4, 0, v4
	s_waitcnt lgkmcnt(1)
	v_add_f32_e32 v28, 0, v28
	v_add_f32_e32 v8, 0, v8
	v_add_f32_e32 v0, v0, v1
	v_dual_add_f32 v16, 0, v16 :: v_dual_add_f32 v1, v4, v5
	ds_load_b128 v[36:39], v40 offset:144
	v_add_f32_e32 v0, v0, v2
	v_add_f32_e32 v1, v1, v6
	;; [unrolled: 1-line block ×12, first 2 shown]
	s_delay_alu instid0(VALU_DEP_1) | instskip(NEXT) | instid1(VALU_DEP_4)
	v_add_f32_e32 v12, v24, v25
	v_add_f32_e32 v24, v2, v11
	ds_load_b128 v[0:3], v40 offset:160
	v_add_f32_e32 v8, v16, v17
	s_waitcnt lgkmcnt(1)
	v_dual_add_f32 v25, v4, v15 :: v_dual_add_f32 v30, 0, v36
	s_delay_alu instid0(VALU_DEP_2) | instskip(NEXT) | instid1(VALU_DEP_1)
	v_add_f32_e32 v5, v8, v18
	v_dual_add_f32 v28, v5, v19 :: v_dual_add_f32 v5, v12, v26
	s_delay_alu instid0(VALU_DEP_1) | instskip(SKIP_2) | instid1(VALU_DEP_1)
	v_add_f32_e32 v26, v5, v27
	s_waitcnt lgkmcnt(0)
	v_dual_add_f32 v27, v6, v31 :: v_dual_add_f32 v0, 0, v0
	v_add_f32_e32 v0, v0, v1
	s_delay_alu instid0(VALU_DEP_1) | instskip(SKIP_1) | instid1(VALU_DEP_1)
	v_add_f32_e32 v0, v0, v2
	v_add_f32_e32 v4, v9, v22
	v_dual_add_f32 v32, 0, v32 :: v_dual_add_f32 v23, v4, v23
	s_delay_alu instid0(VALU_DEP_1) | instskip(NEXT) | instid1(VALU_DEP_1)
	v_add_f32_e32 v7, v32, v33
	v_add_f32_e32 v29, v7, v34
	ds_load_b128 v[4:7], v40 offset:176
	ds_load_b128 v[8:11], v40 offset:192
	;; [unrolled: 1-line block ×4, first 2 shown]
	v_mov_b32_e32 v22, 0x1000
	s_clause 0x7
	global_store_b32 v40, v20, s[0:1]
	global_store_b32 v40, v21, s[0:1] offset:1024
	global_store_b32 v40, v24, s[0:1] offset:2048
	;; [unrolled: 1-line block ×3, first 2 shown]
	global_store_b32 v22, v28, s[0:1]
	global_store_b32 v22, v23, s[0:1] offset:1024
	global_store_b32 v22, v26, s[0:1] offset:2048
	;; [unrolled: 1-line block ×3, first 2 shown]
	v_add_f32_e32 v24, v30, v37
	ds_load_b128 v[20:23], v40 offset:240
	v_dual_add_f32 v36, v29, v35 :: v_dual_mov_b32 v37, 0x2000
	v_add_f32_e32 v28, v24, v38
	ds_load_b128 v[24:27], v40 offset:256
	v_add_f32_e32 v38, v28, v39
	ds_load_b128 v[28:31], v40 offset:272
	ds_load_b128 v[32:35], v40 offset:288
	v_add_f32_e32 v39, v0, v3
	s_waitcnt lgkmcnt(7)
	v_add_f32_e32 v1, 0, v4
	s_waitcnt lgkmcnt(6)
	s_delay_alu instid0(VALU_DEP_1) | instskip(NEXT) | instid1(VALU_DEP_1)
	v_dual_add_f32 v4, 0, v8 :: v_dual_add_f32 v1, v1, v5
	v_add_f32_e32 v2, v4, v9
	s_waitcnt lgkmcnt(5)
	v_add_f32_e32 v4, 0, v12
	s_waitcnt lgkmcnt(4)
	v_dual_add_f32 v5, 0, v16 :: v_dual_add_f32 v0, v1, v6
	s_delay_alu instid0(VALU_DEP_2) | instskip(SKIP_1) | instid1(VALU_DEP_2)
	v_dual_add_f32 v1, v2, v10 :: v_dual_add_f32 v2, v4, v13
	s_waitcnt lgkmcnt(3)
	v_dual_add_f32 v3, v5, v17 :: v_dual_add_f32 v4, 0, v20
	s_delay_alu instid0(VALU_DEP_3) | instskip(NEXT) | instid1(VALU_DEP_3)
	v_add_f32_e32 v20, v0, v7
	v_dual_add_f32 v41, v1, v11 :: v_dual_add_f32 v0, v2, v14
	s_delay_alu instid0(VALU_DEP_3)
	v_dual_add_f32 v1, v3, v18 :: v_dual_add_f32 v2, v4, v21
	s_waitcnt lgkmcnt(2)
	v_add_f32_e32 v3, 0, v24
	ds_load_b128 v[4:7], v40 offset:320
	v_add_f32_e32 v24, v0, v15
	v_add_f32_e32 v42, v1, v19
	v_dual_add_f32 v8, v2, v22 :: v_dual_add_f32 v9, v3, v25
	ds_load_b128 v[0:3], v40 offset:304
	s_waitcnt lgkmcnt(3)
	v_add_f32_e32 v10, 0, v28
	s_waitcnt lgkmcnt(2)
	v_dual_add_f32 v11, 0, v32 :: v_dual_add_f32 v22, v8, v23
	v_add_f32_e32 v23, v9, v26
	v_mov_b32_e32 v21, 0x3000
	v_add_f32_e32 v25, v10, v29
	s_delay_alu instid0(VALU_DEP_4)
	v_add_f32_e32 v26, v11, v33
	ds_load_b128 v[8:11], v40 offset:336
	ds_load_b128 v[12:15], v40 offset:352
	;; [unrolled: 1-line block ×3, first 2 shown]
	v_dual_add_f32 v32, v23, v27 :: v_dual_mov_b32 v33, 0x4000
	s_waitcnt lgkmcnt(4)
	v_add_f32_e32 v4, 0, v4
	s_waitcnt lgkmcnt(3)
	v_add_f32_e32 v0, 0, v0
	s_delay_alu instid0(VALU_DEP_1) | instskip(NEXT) | instid1(VALU_DEP_3)
	v_add_f32_e32 v0, v0, v1
	v_add_f32_e32 v1, v4, v5
	s_waitcnt lgkmcnt(1)
	v_add_f32_e32 v5, 0, v12
	s_clause 0x7
	global_store_b32 v37, v36, s[0:1]
	global_store_b32 v37, v38, s[0:1] offset:1024
	global_store_b32 v37, v39, s[0:1] offset:2048
	;; [unrolled: 1-line block ×3, first 2 shown]
	global_store_b32 v21, v41, s[0:1]
	global_store_b32 v21, v24, s[0:1] offset:1024
	global_store_b32 v21, v42, s[0:1] offset:2048
	;; [unrolled: 1-line block ×3, first 2 shown]
	v_add_f32_e32 v24, v25, v30
	v_add_f32_e32 v25, v26, v34
	ds_load_b128 v[20:23], v40 offset:384
	v_add_f32_e32 v4, 0, v8
	v_add_f32_e32 v0, v0, v2
	;; [unrolled: 1-line block ×4, first 2 shown]
	ds_load_b128 v[24:27], v40 offset:400
	ds_load_b128 v[28:31], v40 offset:416
	s_waitcnt lgkmcnt(3)
	v_dual_add_f32 v2, 0, v16 :: v_dual_add_f32 v1, v1, v6
	v_add_f32_e32 v4, v4, v9
	v_dual_add_f32 v5, v5, v13 :: v_dual_add_f32 v36, v0, v3
	s_delay_alu instid0(VALU_DEP_3) | instskip(NEXT) | instid1(VALU_DEP_3)
	v_dual_add_f32 v0, v2, v17 :: v_dual_add_f32 v37, v1, v7
	v_add_f32_e32 v1, v4, v10
	s_delay_alu instid0(VALU_DEP_3) | instskip(NEXT) | instid1(VALU_DEP_3)
	v_add_f32_e32 v2, v5, v14
	v_add_f32_e32 v0, v0, v18
	s_waitcnt lgkmcnt(2)
	s_delay_alu instid0(VALU_DEP_3) | instskip(NEXT) | instid1(VALU_DEP_3)
	v_dual_add_f32 v38, v1, v11 :: v_dual_add_f32 v3, 0, v20
	v_dual_add_f32 v39, v2, v15 :: v_dual_mov_b32 v20, 0x5000
	s_waitcnt lgkmcnt(1)
	s_delay_alu instid0(VALU_DEP_2)
	v_dual_add_f32 v4, v3, v21 :: v_dual_add_f32 v5, 0, v24
	v_add_f32_e32 v21, v0, v19
	ds_load_b128 v[0:3], v40 offset:432
	s_waitcnt lgkmcnt(1)
	v_add_f32_e32 v12, 0, v28
	v_add_f32_e32 v22, v4, v22
	;; [unrolled: 1-line block ×3, first 2 shown]
	ds_load_b128 v[4:7], v40 offset:448
	ds_load_b128 v[8:11], v40 offset:464
	v_add_f32_e32 v25, v12, v29
	ds_load_b128 v[12:15], v40 offset:480
	ds_load_b128 v[16:19], v40 offset:496
	v_dual_add_f32 v22, v22, v23 :: v_dual_mov_b32 v23, 0x6000
	s_waitcnt lgkmcnt(4)
	v_add_f32_e32 v0, 0, v0
	s_waitcnt lgkmcnt(3)
	v_add_f32_e32 v4, 0, v4
	s_waitcnt lgkmcnt(2)
	s_delay_alu instid0(VALU_DEP_2)
	v_dual_add_f32 v0, v0, v1 :: v_dual_add_f32 v1, 0, v8
	s_waitcnt lgkmcnt(1)
	v_add_f32_e32 v8, 0, v12
	s_waitcnt lgkmcnt(0)
	v_add_f32_e32 v12, 0, v16
	v_add_f32_e32 v4, v4, v5
	v_dual_add_f32 v0, v0, v2 :: v_dual_add_f32 v1, v1, v9
	v_add_f32_e32 v2, v8, v13
	s_delay_alu instid0(VALU_DEP_4)
	v_add_f32_e32 v5, v12, v17
	s_clause 0x7
	global_store_b32 v33, v32, s[0:1]
	global_store_b32 v33, v34, s[0:1] offset:1024
	global_store_b32 v33, v35, s[0:1] offset:2048
	;; [unrolled: 1-line block ×3, first 2 shown]
	global_store_b32 v20, v37, s[0:1]
	global_store_b32 v20, v38, s[0:1] offset:1024
	global_store_b32 v20, v39, s[0:1] offset:2048
	;; [unrolled: 1-line block ×3, first 2 shown]
	v_add_f32_e32 v20, v24, v26
	v_add_f32_e32 v21, v25, v30
	;; [unrolled: 1-line block ×3, first 2 shown]
	v_dual_add_f32 v0, v0, v3 :: v_dual_add_f32 v1, v1, v10
	v_add_f32_e32 v2, v2, v14
	v_dual_add_f32 v3, v5, v18 :: v_dual_add_f32 v20, v20, v27
	v_add_f32_e32 v21, v21, v31
	v_dual_add_f32 v4, v4, v7 :: v_dual_mov_b32 v5, 0x7000
	v_add_f32_e32 v1, v1, v11
	v_add_f32_e32 v2, v2, v15
	;; [unrolled: 1-line block ×3, first 2 shown]
	s_clause 0x7
	global_store_b32 v23, v22, s[0:1]
	global_store_b32 v23, v20, s[0:1] offset:1024
	global_store_b32 v23, v21, s[0:1] offset:2048
	global_store_b32 v23, v0, s[0:1] offset:3072
	global_store_b32 v5, v4, s[0:1]
	global_store_b32 v5, v1, s[0:1] offset:1024
	global_store_b32 v5, v2, s[0:1] offset:2048
	;; [unrolled: 1-line block ×3, first 2 shown]
.LBB31_68:
	s_nop 0
	s_sendmsg sendmsg(MSG_DEALLOC_VGPRS)
	s_endpgm
	.section	.rodata,"a",@progbits
	.p2align	6, 0x0
	.amdhsa_kernel _Z23fp32_router_gemm_kernelIfLi128ELi32ELi256ELi3072EEvPfPKT_PKf
		.amdhsa_group_segment_fixed_size 512
		.amdhsa_private_segment_fixed_size 0
		.amdhsa_kernarg_size 24
		.amdhsa_user_sgpr_count 15
		.amdhsa_user_sgpr_dispatch_ptr 0
		.amdhsa_user_sgpr_queue_ptr 0
		.amdhsa_user_sgpr_kernarg_segment_ptr 1
		.amdhsa_user_sgpr_dispatch_id 0
		.amdhsa_user_sgpr_private_segment_size 0
		.amdhsa_wavefront_size32 1
		.amdhsa_uses_dynamic_stack 0
		.amdhsa_enable_private_segment 0
		.amdhsa_system_sgpr_workgroup_id_x 1
		.amdhsa_system_sgpr_workgroup_id_y 0
		.amdhsa_system_sgpr_workgroup_id_z 0
		.amdhsa_system_sgpr_workgroup_info 0
		.amdhsa_system_vgpr_workitem_id 0
		.amdhsa_next_free_vgpr 109
		.amdhsa_next_free_sgpr 16
		.amdhsa_reserve_vcc 1
		.amdhsa_float_round_mode_32 0
		.amdhsa_float_round_mode_16_64 0
		.amdhsa_float_denorm_mode_32 3
		.amdhsa_float_denorm_mode_16_64 3
		.amdhsa_dx10_clamp 1
		.amdhsa_ieee_mode 1
		.amdhsa_fp16_overflow 0
		.amdhsa_workgroup_processor_mode 1
		.amdhsa_memory_ordered 1
		.amdhsa_forward_progress 0
		.amdhsa_shared_vgpr_count 0
		.amdhsa_exception_fp_ieee_invalid_op 0
		.amdhsa_exception_fp_denorm_src 0
		.amdhsa_exception_fp_ieee_div_zero 0
		.amdhsa_exception_fp_ieee_overflow 0
		.amdhsa_exception_fp_ieee_underflow 0
		.amdhsa_exception_fp_ieee_inexact 0
		.amdhsa_exception_int_div_zero 0
	.end_amdhsa_kernel
	.section	.text._Z23fp32_router_gemm_kernelIfLi128ELi32ELi256ELi3072EEvPfPKT_PKf,"axG",@progbits,_Z23fp32_router_gemm_kernelIfLi128ELi32ELi256ELi3072EEvPfPKT_PKf,comdat
.Lfunc_end31:
	.size	_Z23fp32_router_gemm_kernelIfLi128ELi32ELi256ELi3072EEvPfPKT_PKf, .Lfunc_end31-_Z23fp32_router_gemm_kernelIfLi128ELi32ELi256ELi3072EEvPfPKT_PKf
                                        ; -- End function
	.section	.AMDGPU.csdata,"",@progbits
; Kernel info:
; codeLenInByte = 6524
; NumSgprs: 18
; NumVgprs: 109
; ScratchSize: 0
; MemoryBound: 0
; FloatMode: 240
; IeeeMode: 1
; LDSByteSize: 512 bytes/workgroup (compile time only)
; SGPRBlocks: 2
; VGPRBlocks: 13
; NumSGPRsForWavesPerEU: 18
; NumVGPRsForWavesPerEU: 109
; Occupancy: 12
; WaveLimiterHint : 1
; COMPUTE_PGM_RSRC2:SCRATCH_EN: 0
; COMPUTE_PGM_RSRC2:USER_SGPR: 15
; COMPUTE_PGM_RSRC2:TRAP_HANDLER: 0
; COMPUTE_PGM_RSRC2:TGID_X_EN: 1
; COMPUTE_PGM_RSRC2:TGID_Y_EN: 0
; COMPUTE_PGM_RSRC2:TGID_Z_EN: 0
; COMPUTE_PGM_RSRC2:TIDIG_COMP_CNT: 0
	.section	.text._Z23fp32_router_gemm_kernelI14__hip_bfloat16Li128ELi1ELi256ELi3072EEvPfPKT_PKf,"axG",@progbits,_Z23fp32_router_gemm_kernelI14__hip_bfloat16Li128ELi1ELi256ELi3072EEvPfPKT_PKf,comdat
	.protected	_Z23fp32_router_gemm_kernelI14__hip_bfloat16Li128ELi1ELi256ELi3072EEvPfPKT_PKf ; -- Begin function _Z23fp32_router_gemm_kernelI14__hip_bfloat16Li128ELi1ELi256ELi3072EEvPfPKT_PKf
	.globl	_Z23fp32_router_gemm_kernelI14__hip_bfloat16Li128ELi1ELi256ELi3072EEvPfPKT_PKf
	.p2align	8
	.type	_Z23fp32_router_gemm_kernelI14__hip_bfloat16Li128ELi1ELi256ELi3072EEvPfPKT_PKf,@function
_Z23fp32_router_gemm_kernelI14__hip_bfloat16Li128ELi1ELi256ELi3072EEvPfPKT_PKf: ; @_Z23fp32_router_gemm_kernelI14__hip_bfloat16Li128ELi1ELi256ELi3072EEvPfPKT_PKf
; %bb.0:
	s_clause 0x1
	s_load_b128 s[4:7], s[0:1], 0x0
	s_load_b64 s[0:1], s[0:1], 0x10
	v_lshlrev_b32_e32 v25, 4, v0
	s_mul_i32 s8, s15, 0xc00
	v_lshlrev_b32_e32 v13, 5, v0
	s_ashr_i32 s9, s8, 31
	s_mov_b32 s2, s15
	s_lshl_b64 s[8:9], s[8:9], 2
	s_waitcnt lgkmcnt(0)
	global_load_b128 v[1:4], v25, s[6:7]
	s_add_u32 s0, s0, s8
	s_addc_u32 s1, s1, s9
	s_clause 0x1
	global_load_b128 v[5:8], v13, s[0:1]
	global_load_b128 v[9:12], v13, s[0:1] offset:16
	s_waitcnt vmcnt(2)
	v_lshlrev_b32_e32 v37, 16, v1
	v_and_b32_e32 v1, 0xffff0000, v1
	s_waitcnt vmcnt(1)
	s_delay_alu instid0(VALU_DEP_2) | instskip(SKIP_1) | instid1(VALU_DEP_3)
	v_mul_f32_e32 v5, v5, v37
	v_lshlrev_b32_e32 v37, 16, v2
	v_dual_mul_f32 v1, v6, v1 :: v_dual_and_b32 v2, 0xffff0000, v2
	s_delay_alu instid0(VALU_DEP_3) | instskip(NEXT) | instid1(VALU_DEP_3)
	v_add_f32_e32 v5, 0, v5
	v_mul_f32_e32 v6, v7, v37
	s_delay_alu instid0(VALU_DEP_3) | instskip(SKIP_1) | instid1(VALU_DEP_1)
	v_mul_f32_e32 v2, v8, v2
	v_add_co_u32 v33, s0, s0, v13
	v_add_co_ci_u32_e64 v34, null, s1, 0, s0
	global_load_b128 v[13:16], v25, s[6:7] offset:2048
	v_add_co_u32 v29, vcc_lo, v33, 0x2000
	v_add_co_ci_u32_e32 v30, vcc_lo, 0, v34, vcc_lo
	v_add_co_u32 v21, vcc_lo, 0x1000, v33
	v_add_co_u32 v25, s0, s6, v25
	global_load_b128 v[17:20], v[29:30], off offset:-4096
	v_add_co_ci_u32_e32 v22, vcc_lo, 0, v34, vcc_lo
	v_add_co_ci_u32_e64 v26, null, s7, 0, s0
	v_add_co_u32 v25, vcc_lo, 0x1000, v25
	global_load_b128 v[21:24], v[21:22], off offset:16
	v_add_co_ci_u32_e32 v26, vcc_lo, 0, v26, vcc_lo
	global_load_b128 v[25:28], v[25:26], off
	global_load_b128 v[29:32], v[29:30], off
	v_add_co_u32 v33, vcc_lo, 0x2000, v33
	v_add_co_ci_u32_e32 v34, vcc_lo, 0, v34, vcc_lo
	v_add_f32_e32 v1, v5, v1
	v_lshlrev_b32_e32 v5, 16, v3
	v_and_b32_e32 v3, 0xffff0000, v3
	global_load_b128 v[33:36], v[33:34], off offset:16
	s_mov_b32 s0, exec_lo
	v_add_f32_e32 v1, v1, v6
	s_waitcnt vmcnt(6)
	v_mul_f32_e32 v5, v9, v5
	v_mul_f32_e32 v3, v10, v3
	s_delay_alu instid0(VALU_DEP_3) | instskip(NEXT) | instid1(VALU_DEP_1)
	v_dual_add_f32 v1, v1, v2 :: v_dual_lshlrev_b32 v2, 16, v4
	v_dual_add_f32 v1, v1, v5 :: v_dual_and_b32 v4, 0xffff0000, v4
	s_delay_alu instid0(VALU_DEP_2) | instskip(NEXT) | instid1(VALU_DEP_2)
	v_mul_f32_e32 v2, v11, v2
	v_dual_mul_f32 v4, v12, v4 :: v_dual_add_f32 v1, v1, v3
	s_delay_alu instid0(VALU_DEP_1) | instskip(NEXT) | instid1(VALU_DEP_1)
	v_add_f32_e32 v1, v1, v2
	v_add_f32_e32 v1, v1, v4
	s_waitcnt vmcnt(5)
	v_lshlrev_b32_e32 v3, 16, v13
	v_and_b32_e32 v2, 0xffff0000, v13
	s_waitcnt vmcnt(4)
	s_delay_alu instid0(VALU_DEP_2) | instskip(NEXT) | instid1(VALU_DEP_2)
	v_dual_mul_f32 v3, v17, v3 :: v_dual_lshlrev_b32 v4, 16, v14
	v_mul_f32_e32 v2, v18, v2
	s_delay_alu instid0(VALU_DEP_2) | instskip(SKIP_1) | instid1(VALU_DEP_2)
	v_dual_mul_f32 v4, v19, v4 :: v_dual_add_f32 v1, v1, v3
	v_and_b32_e32 v3, 0xffff0000, v14
	v_dual_add_f32 v1, v1, v2 :: v_dual_lshlrev_b32 v2, 16, v15
	s_delay_alu instid0(VALU_DEP_2)
	v_mul_f32_e32 v3, v20, v3
	s_waitcnt vmcnt(2)
	v_lshlrev_b32_e32 v5, 16, v28
	v_and_b32_e32 v6, 0xffff0000, v28
	v_dual_add_f32 v1, v1, v4 :: v_dual_and_b32 v4, 0xffff0000, v15
	v_mul_f32_e32 v2, v21, v2
	s_delay_alu instid0(VALU_DEP_2) | instskip(SKIP_3) | instid1(VALU_DEP_3)
	v_add_f32_e32 v1, v1, v3
	v_lshlrev_b32_e32 v3, 16, v16
	s_waitcnt vmcnt(0)
	v_dual_mul_f32 v4, v22, v4 :: v_dual_mul_f32 v5, v35, v5
	v_dual_add_f32 v1, v1, v2 :: v_dual_and_b32 v2, 0xffff0000, v16
	s_delay_alu instid0(VALU_DEP_3) | instskip(NEXT) | instid1(VALU_DEP_2)
	v_mul_f32_e32 v3, v23, v3
	v_dual_add_f32 v1, v1, v4 :: v_dual_lshlrev_b32 v4, 16, v25
	s_delay_alu instid0(VALU_DEP_1) | instskip(NEXT) | instid1(VALU_DEP_2)
	v_dual_mul_f32 v2, v24, v2 :: v_dual_add_f32 v1, v1, v3
	v_dual_mul_f32 v4, v29, v4 :: v_dual_and_b32 v3, 0xffff0000, v25
	s_delay_alu instid0(VALU_DEP_2) | instskip(NEXT) | instid1(VALU_DEP_2)
	v_add_f32_e32 v1, v1, v2
	v_dual_mul_f32 v3, v30, v3 :: v_dual_lshlrev_b32 v2, 16, v26
	s_delay_alu instid0(VALU_DEP_2) | instskip(NEXT) | instid1(VALU_DEP_1)
	v_dual_add_f32 v1, v1, v4 :: v_dual_and_b32 v4, 0xffff0000, v26
	v_dual_mul_f32 v2, v31, v2 :: v_dual_add_f32 v1, v1, v3
	s_delay_alu instid0(VALU_DEP_2) | instskip(NEXT) | instid1(VALU_DEP_2)
	v_dual_mul_f32 v4, v32, v4 :: v_dual_lshlrev_b32 v3, 16, v27
	v_dual_add_f32 v1, v1, v2 :: v_dual_and_b32 v2, 0xffff0000, v27
	s_delay_alu instid0(VALU_DEP_2) | instskip(NEXT) | instid1(VALU_DEP_2)
	v_mul_f32_e32 v3, v33, v3
	v_add_f32_e32 v1, v1, v4
	v_mbcnt_lo_u32_b32 v4, -1, 0
	s_delay_alu instid0(VALU_DEP_2) | instskip(NEXT) | instid1(VALU_DEP_2)
	v_dual_mul_f32 v2, v34, v2 :: v_dual_add_f32 v1, v1, v3
	v_xor_b32_e32 v3, 16, v4
	s_delay_alu instid0(VALU_DEP_2) | instskip(NEXT) | instid1(VALU_DEP_2)
	v_add_f32_e32 v1, v1, v2
	v_cmp_gt_i32_e32 vcc_lo, 32, v3
	s_delay_alu instid0(VALU_DEP_2) | instskip(SKIP_1) | instid1(VALU_DEP_1)
	v_dual_add_f32 v1, v1, v5 :: v_dual_cndmask_b32 v2, v4, v3
	v_mul_f32_e32 v3, v36, v6
	v_dual_add_f32 v1, v1, v3 :: v_dual_lshlrev_b32 v2, 2, v2
	v_xor_b32_e32 v3, 8, v4
	ds_bpermute_b32 v2, v2, v1
	v_cmp_gt_i32_e32 vcc_lo, 32, v3
	v_cndmask_b32_e32 v3, v4, v3, vcc_lo
	s_delay_alu instid0(VALU_DEP_1) | instskip(SKIP_4) | instid1(VALU_DEP_1)
	v_lshlrev_b32_e32 v3, 2, v3
	s_waitcnt lgkmcnt(0)
	v_add_f32_e32 v1, v1, v2
	ds_bpermute_b32 v2, v3, v1
	v_xor_b32_e32 v3, 4, v4
	v_cmp_gt_i32_e32 vcc_lo, 32, v3
	v_cndmask_b32_e32 v3, v4, v3, vcc_lo
	s_delay_alu instid0(VALU_DEP_1) | instskip(SKIP_4) | instid1(VALU_DEP_1)
	v_lshlrev_b32_e32 v3, 2, v3
	s_waitcnt lgkmcnt(0)
	v_add_f32_e32 v1, v1, v2
	ds_bpermute_b32 v2, v3, v1
	v_xor_b32_e32 v3, 2, v4
	;; [unrolled: 8-line block ×3, first 2 shown]
	v_cmp_gt_i32_e32 vcc_lo, 32, v3
	v_cndmask_b32_e32 v3, v4, v3, vcc_lo
	s_waitcnt lgkmcnt(0)
	s_delay_alu instid0(VALU_DEP_1)
	v_dual_add_f32 v1, v1, v2 :: v_dual_lshlrev_b32 v2, 2, v3
	v_and_b32_e32 v3, 31, v0
	ds_bpermute_b32 v2, v2, v1
	v_cmpx_eq_u32_e32 0, v3
	s_cbranch_execz .LBB32_2
; %bb.1:
	v_lshrrev_b32_e32 v3, 3, v0
	s_waitcnt lgkmcnt(0)
	v_add_f32_e32 v1, v1, v2
	ds_store_b32 v3, v1
.LBB32_2:
	s_or_b32 exec_lo, exec_lo, s0
	s_waitcnt lgkmcnt(0)
	s_barrier
	buffer_gl0_inv
	s_mov_b32 s0, exec_lo
	v_cmpx_eq_u32_e32 0, v0
	s_cbranch_execz .LBB32_4
; %bb.3:
	v_mov_b32_e32 v4, 0
	s_ashr_i32 s3, s2, 31
	s_delay_alu instid0(SALU_CYCLE_1) | instskip(NEXT) | instid1(SALU_CYCLE_1)
	s_lshl_b64 s[0:1], s[2:3], 2
	s_add_u32 s0, s4, s0
	ds_load_b128 v[0:3], v4
	s_addc_u32 s1, s5, s1
	s_waitcnt lgkmcnt(0)
	v_add_f32_e32 v0, 0, v0
	s_delay_alu instid0(VALU_DEP_1) | instskip(NEXT) | instid1(VALU_DEP_1)
	v_add_f32_e32 v0, v0, v1
	v_add_f32_e32 v0, v0, v2
	s_delay_alu instid0(VALU_DEP_1)
	v_add_f32_e32 v0, v0, v3
	global_store_b32 v4, v0, s[0:1]
.LBB32_4:
	s_nop 0
	s_sendmsg sendmsg(MSG_DEALLOC_VGPRS)
	s_endpgm
	.section	.rodata,"a",@progbits
	.p2align	6, 0x0
	.amdhsa_kernel _Z23fp32_router_gemm_kernelI14__hip_bfloat16Li128ELi1ELi256ELi3072EEvPfPKT_PKf
		.amdhsa_group_segment_fixed_size 16
		.amdhsa_private_segment_fixed_size 0
		.amdhsa_kernarg_size 24
		.amdhsa_user_sgpr_count 15
		.amdhsa_user_sgpr_dispatch_ptr 0
		.amdhsa_user_sgpr_queue_ptr 0
		.amdhsa_user_sgpr_kernarg_segment_ptr 1
		.amdhsa_user_sgpr_dispatch_id 0
		.amdhsa_user_sgpr_private_segment_size 0
		.amdhsa_wavefront_size32 1
		.amdhsa_uses_dynamic_stack 0
		.amdhsa_enable_private_segment 0
		.amdhsa_system_sgpr_workgroup_id_x 1
		.amdhsa_system_sgpr_workgroup_id_y 0
		.amdhsa_system_sgpr_workgroup_id_z 0
		.amdhsa_system_sgpr_workgroup_info 0
		.amdhsa_system_vgpr_workitem_id 0
		.amdhsa_next_free_vgpr 38
		.amdhsa_next_free_sgpr 16
		.amdhsa_reserve_vcc 1
		.amdhsa_float_round_mode_32 0
		.amdhsa_float_round_mode_16_64 0
		.amdhsa_float_denorm_mode_32 3
		.amdhsa_float_denorm_mode_16_64 3
		.amdhsa_dx10_clamp 1
		.amdhsa_ieee_mode 1
		.amdhsa_fp16_overflow 0
		.amdhsa_workgroup_processor_mode 1
		.amdhsa_memory_ordered 1
		.amdhsa_forward_progress 0
		.amdhsa_shared_vgpr_count 0
		.amdhsa_exception_fp_ieee_invalid_op 0
		.amdhsa_exception_fp_denorm_src 0
		.amdhsa_exception_fp_ieee_div_zero 0
		.amdhsa_exception_fp_ieee_overflow 0
		.amdhsa_exception_fp_ieee_underflow 0
		.amdhsa_exception_fp_ieee_inexact 0
		.amdhsa_exception_int_div_zero 0
	.end_amdhsa_kernel
	.section	.text._Z23fp32_router_gemm_kernelI14__hip_bfloat16Li128ELi1ELi256ELi3072EEvPfPKT_PKf,"axG",@progbits,_Z23fp32_router_gemm_kernelI14__hip_bfloat16Li128ELi1ELi256ELi3072EEvPfPKT_PKf,comdat
.Lfunc_end32:
	.size	_Z23fp32_router_gemm_kernelI14__hip_bfloat16Li128ELi1ELi256ELi3072EEvPfPKT_PKf, .Lfunc_end32-_Z23fp32_router_gemm_kernelI14__hip_bfloat16Li128ELi1ELi256ELi3072EEvPfPKT_PKf
                                        ; -- End function
	.section	.AMDGPU.csdata,"",@progbits
; Kernel info:
; codeLenInByte = 996
; NumSgprs: 18
; NumVgprs: 38
; ScratchSize: 0
; MemoryBound: 0
; FloatMode: 240
; IeeeMode: 1
; LDSByteSize: 16 bytes/workgroup (compile time only)
; SGPRBlocks: 2
; VGPRBlocks: 4
; NumSGPRsForWavesPerEU: 18
; NumVGPRsForWavesPerEU: 38
; Occupancy: 16
; WaveLimiterHint : 0
; COMPUTE_PGM_RSRC2:SCRATCH_EN: 0
; COMPUTE_PGM_RSRC2:USER_SGPR: 15
; COMPUTE_PGM_RSRC2:TRAP_HANDLER: 0
; COMPUTE_PGM_RSRC2:TGID_X_EN: 1
; COMPUTE_PGM_RSRC2:TGID_Y_EN: 0
; COMPUTE_PGM_RSRC2:TGID_Z_EN: 0
; COMPUTE_PGM_RSRC2:TIDIG_COMP_CNT: 0
	.section	.text._Z23fp32_router_gemm_kernelI14__hip_bfloat16Li128ELi2ELi256ELi3072EEvPfPKT_PKf,"axG",@progbits,_Z23fp32_router_gemm_kernelI14__hip_bfloat16Li128ELi2ELi256ELi3072EEvPfPKT_PKf,comdat
	.protected	_Z23fp32_router_gemm_kernelI14__hip_bfloat16Li128ELi2ELi256ELi3072EEvPfPKT_PKf ; -- Begin function _Z23fp32_router_gemm_kernelI14__hip_bfloat16Li128ELi2ELi256ELi3072EEvPfPKT_PKf
	.globl	_Z23fp32_router_gemm_kernelI14__hip_bfloat16Li128ELi2ELi256ELi3072EEvPfPKT_PKf
	.p2align	8
	.type	_Z23fp32_router_gemm_kernelI14__hip_bfloat16Li128ELi2ELi256ELi3072EEvPfPKT_PKf,@function
_Z23fp32_router_gemm_kernelI14__hip_bfloat16Li128ELi2ELi256ELi3072EEvPfPKT_PKf: ; @_Z23fp32_router_gemm_kernelI14__hip_bfloat16Li128ELi2ELi256ELi3072EEvPfPKT_PKf
; %bb.0:
	s_clause 0x1
	s_load_b128 s[4:7], s[0:1], 0x0
	s_load_b64 s[0:1], s[0:1], 0x10
	v_lshlrev_b32_e32 v19, 4, v0
	s_mul_i32 s8, s15, 0xc00
	v_lshlrev_b32_e32 v9, 5, v0
	s_ashr_i32 s9, s8, 31
	s_mov_b32 s2, s15
	s_lshl_b64 s[8:9], s[8:9], 2
	s_waitcnt lgkmcnt(0)
	global_load_b128 v[37:40], v19, s[6:7]
	s_add_u32 s0, s0, s8
	s_addc_u32 s1, s1, s9
	s_clause 0x1
	global_load_b128 v[5:8], v9, s[0:1]
	global_load_b128 v[1:4], v9, s[0:1] offset:16
	v_add_co_u32 v20, s0, s0, v9
	s_delay_alu instid0(VALU_DEP_1)
	v_add_co_ci_u32_e64 v27, null, s1, 0, s0
	global_load_b128 v[41:44], v19, s[6:7] offset:2048
	v_add_co_u32 v17, vcc_lo, v20, 0x2000
	v_add_co_ci_u32_e32 v18, vcc_lo, 0, v27, vcc_lo
	v_add_co_u32 v9, vcc_lo, 0x1000, v20
	v_add_co_ci_u32_e32 v10, vcc_lo, 0, v27, vcc_lo
	global_load_b128 v[13:16], v[17:18], off offset:-4096
	v_add_co_u32 v28, s0, s6, v19
	global_load_b128 v[9:12], v[9:10], off offset:16
	v_add_co_ci_u32_e64 v29, null, s7, 0, s0
	v_add_co_u32 v25, vcc_lo, 0x1000, v28
	s_delay_alu instid0(VALU_DEP_2)
	v_add_co_ci_u32_e32 v26, vcc_lo, 0, v29, vcc_lo
	global_load_b128 v[45:48], v[25:26], off
	global_load_b128 v[21:24], v[17:18], off
	v_add_co_u32 v17, vcc_lo, 0x2000, v20
	v_add_co_ci_u32_e32 v18, vcc_lo, 0, v27, vcc_lo
	v_add_co_u32 v27, vcc_lo, 0x2000, v28
	v_add_co_ci_u32_e32 v28, vcc_lo, 0, v29, vcc_lo
	global_load_b128 v[17:20], v[17:18], off offset:16
	s_clause 0x2
	global_load_b128 v[33:36], v[25:26], off offset:2048
	global_load_b128 v[29:32], v[27:28], off
	global_load_b128 v[25:28], v[27:28], off offset:2048
	s_waitcnt vmcnt(11)
	v_lshlrev_b32_e32 v49, 16, v37
	v_and_b32_e32 v37, 0xffff0000, v37
	s_waitcnt vmcnt(10)
	s_delay_alu instid0(VALU_DEP_2) | instskip(NEXT) | instid1(VALU_DEP_1)
	v_fma_f32 v49, v5, v49, 0
	v_dual_fmac_f32 v49, v6, v37 :: v_dual_lshlrev_b32 v50, 16, v38
	v_and_b32_e32 v37, 0xffff0000, v38
	s_delay_alu instid0(VALU_DEP_2) | instskip(NEXT) | instid1(VALU_DEP_1)
	v_dual_fmac_f32 v49, v7, v50 :: v_dual_lshlrev_b32 v38, 16, v39
	v_fmac_f32_e32 v49, v8, v37
	v_and_b32_e32 v37, 0xffff0000, v39
	s_waitcnt vmcnt(9)
	s_delay_alu instid0(VALU_DEP_2) | instskip(NEXT) | instid1(VALU_DEP_1)
	v_dual_fmac_f32 v49, v1, v38 :: v_dual_lshlrev_b32 v38, 16, v40
	v_fmac_f32_e32 v49, v2, v37
	v_and_b32_e32 v37, 0xffff0000, v40
	s_waitcnt vmcnt(5)
	v_and_b32_e32 v39, 0xffff0000, v48
	s_delay_alu instid0(VALU_DEP_3) | instskip(NEXT) | instid1(VALU_DEP_1)
	v_dual_fmac_f32 v49, v3, v38 :: v_dual_lshlrev_b32 v38, 16, v41
	v_fmac_f32_e32 v49, v4, v37
	v_and_b32_e32 v37, 0xffff0000, v41
	v_mbcnt_lo_u32_b32 v41, -1, 0
	s_delay_alu instid0(VALU_DEP_3) | instskip(NEXT) | instid1(VALU_DEP_1)
	v_fmac_f32_e32 v49, v13, v38
	v_dual_fmac_f32 v49, v14, v37 :: v_dual_lshlrev_b32 v38, 16, v42
	v_and_b32_e32 v37, 0xffff0000, v42
	s_delay_alu instid0(VALU_DEP_2) | instskip(NEXT) | instid1(VALU_DEP_1)
	v_dual_fmac_f32 v49, v15, v38 :: v_dual_lshlrev_b32 v38, 16, v43
	v_fmac_f32_e32 v49, v16, v37
	v_and_b32_e32 v37, 0xffff0000, v43
	s_delay_alu instid0(VALU_DEP_2) | instskip(NEXT) | instid1(VALU_DEP_1)
	v_dual_fmac_f32 v49, v9, v38 :: v_dual_lshlrev_b32 v38, 16, v44
	v_fmac_f32_e32 v49, v10, v37
	;; [unrolled: 4-line block ×3, first 2 shown]
	v_and_b32_e32 v37, 0xffff0000, v45
	v_lshrrev_b32_e32 v45, 5, v0
	s_waitcnt vmcnt(4)
	s_delay_alu instid0(VALU_DEP_3) | instskip(NEXT) | instid1(VALU_DEP_1)
	v_fmac_f32_e32 v49, v21, v38
	v_dual_fmac_f32 v49, v22, v37 :: v_dual_lshlrev_b32 v38, 16, v46
	v_and_b32_e32 v37, 0xffff0000, v46
	s_delay_alu instid0(VALU_DEP_2) | instskip(NEXT) | instid1(VALU_DEP_1)
	v_dual_fmac_f32 v49, v23, v38 :: v_dual_lshlrev_b32 v38, 16, v47
	v_fmac_f32_e32 v49, v24, v37
	v_and_b32_e32 v37, 0xffff0000, v47
	s_waitcnt vmcnt(3)
	s_delay_alu instid0(VALU_DEP_2) | instskip(NEXT) | instid1(VALU_DEP_1)
	v_dual_fmac_f32 v49, v17, v38 :: v_dual_lshlrev_b32 v38, 16, v48
	v_fmac_f32_e32 v49, v18, v37
	v_xor_b32_e32 v37, 16, v41
	s_delay_alu instid0(VALU_DEP_2) | instskip(NEXT) | instid1(VALU_DEP_2)
	v_fmac_f32_e32 v49, v19, v38
	v_cmp_gt_i32_e32 vcc_lo, 32, v37
	v_xor_b32_e32 v38, 8, v41
	s_delay_alu instid0(VALU_DEP_3) | instskip(SKIP_1) | instid1(VALU_DEP_3)
	v_fmac_f32_e32 v49, v20, v39
	v_cndmask_b32_e32 v37, v41, v37, vcc_lo
	v_cmp_gt_i32_e32 vcc_lo, 32, v38
	s_delay_alu instid0(VALU_DEP_2)
	v_dual_cndmask_b32 v38, v41, v38 :: v_dual_lshlrev_b32 v37, 2, v37
	ds_bpermute_b32 v39, v37, v49
	v_lshlrev_b32_e32 v38, 2, v38
	s_waitcnt lgkmcnt(0)
	v_add_f32_e32 v40, v49, v39
	v_xor_b32_e32 v39, 4, v41
	ds_bpermute_b32 v42, v38, v40
	v_cmp_gt_i32_e32 vcc_lo, 32, v39
	v_cndmask_b32_e32 v39, v41, v39, vcc_lo
	s_waitcnt lgkmcnt(0)
	s_delay_alu instid0(VALU_DEP_1)
	v_dual_add_f32 v42, v40, v42 :: v_dual_lshlrev_b32 v39, 2, v39
	v_xor_b32_e32 v40, 2, v41
	ds_bpermute_b32 v43, v39, v42
	v_cmp_gt_i32_e32 vcc_lo, 32, v40
	v_cndmask_b32_e32 v40, v41, v40, vcc_lo
	s_waitcnt lgkmcnt(0)
	s_delay_alu instid0(VALU_DEP_1) | instskip(SKIP_4) | instid1(VALU_DEP_1)
	v_dual_add_f32 v43, v42, v43 :: v_dual_lshlrev_b32 v40, 2, v40
	v_xor_b32_e32 v42, 1, v41
	ds_bpermute_b32 v44, v40, v43
	v_cmp_gt_i32_e32 vcc_lo, 32, v42
	v_cndmask_b32_e32 v41, v41, v42, vcc_lo
	v_lshlrev_b32_e32 v42, 2, v41
	v_and_b32_e32 v41, 31, v0
	s_delay_alu instid0(VALU_DEP_1)
	v_cmp_eq_u32_e32 vcc_lo, 0, v41
	v_lshlrev_b32_e32 v41, 2, v45
	s_waitcnt lgkmcnt(0)
	v_add_f32_e32 v43, v43, v44
	ds_bpermute_b32 v44, v42, v43
	s_and_saveexec_b32 s0, vcc_lo
	s_cbranch_execz .LBB33_2
; %bb.1:
	s_waitcnt lgkmcnt(0)
	v_add_f32_e32 v43, v43, v44
	ds_store_b32 v41, v43
.LBB33_2:
	s_or_b32 exec_lo, exec_lo, s0
	s_waitcnt vmcnt(2)
	v_lshlrev_b32_e32 v43, 16, v33
	v_and_b32_e32 v33, 0xffff0000, v33
	s_delay_alu instid0(VALU_DEP_2) | instskip(SKIP_1) | instid1(VALU_DEP_2)
	v_fma_f32 v5, v5, v43, 0
	v_lshlrev_b32_e32 v43, 16, v34
	v_dual_fmac_f32 v5, v6, v33 :: v_dual_and_b32 v6, 0xffff0000, v34
	s_delay_alu instid0(VALU_DEP_1) | instskip(SKIP_1) | instid1(VALU_DEP_2)
	v_fmac_f32_e32 v5, v7, v43
	v_lshlrev_b32_e32 v7, 16, v35
	v_dual_fmac_f32 v5, v8, v6 :: v_dual_and_b32 v6, 0xffff0000, v35
	s_delay_alu instid0(VALU_DEP_1) | instskip(SKIP_1) | instid1(VALU_DEP_2)
	v_fmac_f32_e32 v5, v1, v7
	v_lshlrev_b32_e32 v1, 16, v36
	v_dual_fmac_f32 v5, v2, v6 :: v_dual_and_b32 v2, 0xffff0000, v36
	s_delay_alu instid0(VALU_DEP_1) | instskip(SKIP_2) | instid1(VALU_DEP_2)
	v_fmac_f32_e32 v5, v3, v1
	s_waitcnt vmcnt(1)
	v_lshlrev_b32_e32 v1, 16, v29
	v_dual_fmac_f32 v5, v4, v2 :: v_dual_and_b32 v2, 0xffff0000, v29
	s_delay_alu instid0(VALU_DEP_1) | instskip(SKIP_1) | instid1(VALU_DEP_2)
	v_fmac_f32_e32 v5, v13, v1
	v_lshlrev_b32_e32 v1, 16, v30
	v_fmac_f32_e32 v5, v14, v2
	s_delay_alu instid0(VALU_DEP_1) | instskip(SKIP_1) | instid1(VALU_DEP_2)
	v_dual_fmac_f32 v5, v15, v1 :: v_dual_and_b32 v2, 0xffff0000, v30
	v_lshlrev_b32_e32 v1, 16, v31
	v_dual_fmac_f32 v5, v16, v2 :: v_dual_and_b32 v2, 0xffff0000, v31
	s_delay_alu instid0(VALU_DEP_1) | instskip(SKIP_1) | instid1(VALU_DEP_2)
	v_fmac_f32_e32 v5, v9, v1
	v_lshlrev_b32_e32 v1, 16, v32
	v_dual_fmac_f32 v5, v10, v2 :: v_dual_and_b32 v2, 0xffff0000, v32
	s_delay_alu instid0(VALU_DEP_1) | instskip(SKIP_2) | instid1(VALU_DEP_2)
	v_fmac_f32_e32 v5, v11, v1
	s_waitcnt vmcnt(0)
	v_lshlrev_b32_e32 v1, 16, v25
	v_dual_fmac_f32 v5, v12, v2 :: v_dual_and_b32 v2, 0xffff0000, v25
	s_delay_alu instid0(VALU_DEP_1) | instskip(SKIP_1) | instid1(VALU_DEP_2)
	v_fmac_f32_e32 v5, v21, v1
	v_lshlrev_b32_e32 v1, 16, v26
	v_fmac_f32_e32 v5, v22, v2
	s_delay_alu instid0(VALU_DEP_1) | instskip(SKIP_1) | instid1(VALU_DEP_2)
	v_dual_fmac_f32 v5, v23, v1 :: v_dual_and_b32 v2, 0xffff0000, v26
	v_lshlrev_b32_e32 v1, 16, v27
	v_dual_fmac_f32 v5, v24, v2 :: v_dual_and_b32 v2, 0xffff0000, v27
	s_delay_alu instid0(VALU_DEP_1) | instskip(SKIP_1) | instid1(VALU_DEP_2)
	v_fmac_f32_e32 v5, v17, v1
	v_lshlrev_b32_e32 v1, 16, v28
	v_dual_fmac_f32 v5, v18, v2 :: v_dual_and_b32 v2, 0xffff0000, v28
	s_delay_alu instid0(VALU_DEP_1) | instskip(NEXT) | instid1(VALU_DEP_1)
	v_fmac_f32_e32 v5, v19, v1
	v_fmac_f32_e32 v5, v20, v2
	ds_bpermute_b32 v1, v37, v5
	s_waitcnt lgkmcnt(0)
	v_add_f32_e32 v1, v5, v1
	ds_bpermute_b32 v2, v38, v1
	s_waitcnt lgkmcnt(0)
	v_add_f32_e32 v1, v1, v2
	;; [unrolled: 3-line block ×4, first 2 shown]
	ds_bpermute_b32 v2, v42, v1
	s_and_saveexec_b32 s0, vcc_lo
	s_cbranch_execz .LBB33_4
; %bb.3:
	s_waitcnt lgkmcnt(0)
	v_add_f32_e32 v1, v1, v2
	ds_store_b32 v41, v1 offset:16
.LBB33_4:
	s_or_b32 exec_lo, exec_lo, s0
	s_waitcnt lgkmcnt(0)
	s_barrier
	buffer_gl0_inv
	s_mov_b32 s0, exec_lo
	v_cmpx_eq_u32_e32 0, v0
	s_cbranch_execz .LBB33_6
; %bb.5:
	v_mov_b32_e32 v8, 0
	s_ashr_i32 s3, s2, 31
	ds_load_b128 v[0:3], v8
	ds_load_b128 v[4:7], v8 offset:16
	s_lshl_b64 s[0:1], s[2:3], 2
	s_delay_alu instid0(SALU_CYCLE_1)
	s_add_u32 s0, s4, s0
	s_addc_u32 s1, s5, s1
	s_waitcnt lgkmcnt(1)
	v_add_f32_e32 v0, 0, v0
	s_waitcnt lgkmcnt(0)
	v_add_f32_e32 v4, 0, v4
	s_delay_alu instid0(VALU_DEP_2) | instskip(NEXT) | instid1(VALU_DEP_2)
	v_add_f32_e32 v0, v0, v1
	v_add_f32_e32 v1, v4, v5
	s_delay_alu instid0(VALU_DEP_2) | instskip(NEXT) | instid1(VALU_DEP_1)
	v_add_f32_e32 v0, v0, v2
	v_dual_add_f32 v1, v1, v6 :: v_dual_add_f32 v0, v0, v3
	s_delay_alu instid0(VALU_DEP_1)
	v_add_f32_e32 v1, v1, v7
	s_clause 0x1
	global_store_b32 v8, v0, s[0:1]
	global_store_b32 v8, v1, s[0:1] offset:1024
.LBB33_6:
	s_nop 0
	s_sendmsg sendmsg(MSG_DEALLOC_VGPRS)
	s_endpgm
	.section	.rodata,"a",@progbits
	.p2align	6, 0x0
	.amdhsa_kernel _Z23fp32_router_gemm_kernelI14__hip_bfloat16Li128ELi2ELi256ELi3072EEvPfPKT_PKf
		.amdhsa_group_segment_fixed_size 32
		.amdhsa_private_segment_fixed_size 0
		.amdhsa_kernarg_size 24
		.amdhsa_user_sgpr_count 15
		.amdhsa_user_sgpr_dispatch_ptr 0
		.amdhsa_user_sgpr_queue_ptr 0
		.amdhsa_user_sgpr_kernarg_segment_ptr 1
		.amdhsa_user_sgpr_dispatch_id 0
		.amdhsa_user_sgpr_private_segment_size 0
		.amdhsa_wavefront_size32 1
		.amdhsa_uses_dynamic_stack 0
		.amdhsa_enable_private_segment 0
		.amdhsa_system_sgpr_workgroup_id_x 1
		.amdhsa_system_sgpr_workgroup_id_y 0
		.amdhsa_system_sgpr_workgroup_id_z 0
		.amdhsa_system_sgpr_workgroup_info 0
		.amdhsa_system_vgpr_workitem_id 0
		.amdhsa_next_free_vgpr 51
		.amdhsa_next_free_sgpr 16
		.amdhsa_reserve_vcc 1
		.amdhsa_float_round_mode_32 0
		.amdhsa_float_round_mode_16_64 0
		.amdhsa_float_denorm_mode_32 3
		.amdhsa_float_denorm_mode_16_64 3
		.amdhsa_dx10_clamp 1
		.amdhsa_ieee_mode 1
		.amdhsa_fp16_overflow 0
		.amdhsa_workgroup_processor_mode 1
		.amdhsa_memory_ordered 1
		.amdhsa_forward_progress 0
		.amdhsa_shared_vgpr_count 0
		.amdhsa_exception_fp_ieee_invalid_op 0
		.amdhsa_exception_fp_denorm_src 0
		.amdhsa_exception_fp_ieee_div_zero 0
		.amdhsa_exception_fp_ieee_overflow 0
		.amdhsa_exception_fp_ieee_underflow 0
		.amdhsa_exception_fp_ieee_inexact 0
		.amdhsa_exception_int_div_zero 0
	.end_amdhsa_kernel
	.section	.text._Z23fp32_router_gemm_kernelI14__hip_bfloat16Li128ELi2ELi256ELi3072EEvPfPKT_PKf,"axG",@progbits,_Z23fp32_router_gemm_kernelI14__hip_bfloat16Li128ELi2ELi256ELi3072EEvPfPKT_PKf,comdat
.Lfunc_end33:
	.size	_Z23fp32_router_gemm_kernelI14__hip_bfloat16Li128ELi2ELi256ELi3072EEvPfPKT_PKf, .Lfunc_end33-_Z23fp32_router_gemm_kernelI14__hip_bfloat16Li128ELi2ELi256ELi3072EEvPfPKT_PKf
                                        ; -- End function
	.section	.AMDGPU.csdata,"",@progbits
; Kernel info:
; codeLenInByte = 1380
; NumSgprs: 18
; NumVgprs: 51
; ScratchSize: 0
; MemoryBound: 0
; FloatMode: 240
; IeeeMode: 1
; LDSByteSize: 32 bytes/workgroup (compile time only)
; SGPRBlocks: 2
; VGPRBlocks: 6
; NumSGPRsForWavesPerEU: 18
; NumVGPRsForWavesPerEU: 51
; Occupancy: 16
; WaveLimiterHint : 1
; COMPUTE_PGM_RSRC2:SCRATCH_EN: 0
; COMPUTE_PGM_RSRC2:USER_SGPR: 15
; COMPUTE_PGM_RSRC2:TRAP_HANDLER: 0
; COMPUTE_PGM_RSRC2:TGID_X_EN: 1
; COMPUTE_PGM_RSRC2:TGID_Y_EN: 0
; COMPUTE_PGM_RSRC2:TGID_Z_EN: 0
; COMPUTE_PGM_RSRC2:TIDIG_COMP_CNT: 0
	.section	.text._Z23fp32_router_gemm_kernelI14__hip_bfloat16Li128ELi3ELi256ELi3072EEvPfPKT_PKf,"axG",@progbits,_Z23fp32_router_gemm_kernelI14__hip_bfloat16Li128ELi3ELi256ELi3072EEvPfPKT_PKf,comdat
	.protected	_Z23fp32_router_gemm_kernelI14__hip_bfloat16Li128ELi3ELi256ELi3072EEvPfPKT_PKf ; -- Begin function _Z23fp32_router_gemm_kernelI14__hip_bfloat16Li128ELi3ELi256ELi3072EEvPfPKT_PKf
	.globl	_Z23fp32_router_gemm_kernelI14__hip_bfloat16Li128ELi3ELi256ELi3072EEvPfPKT_PKf
	.p2align	8
	.type	_Z23fp32_router_gemm_kernelI14__hip_bfloat16Li128ELi3ELi256ELi3072EEvPfPKT_PKf,@function
_Z23fp32_router_gemm_kernelI14__hip_bfloat16Li128ELi3ELi256ELi3072EEvPfPKT_PKf: ; @_Z23fp32_router_gemm_kernelI14__hip_bfloat16Li128ELi3ELi256ELi3072EEvPfPKT_PKf
; %bb.0:
	s_clause 0x1
	s_load_b128 s[4:7], s[0:1], 0x0
	s_load_b64 s[0:1], s[0:1], 0x10
	v_lshlrev_b32_e32 v19, 4, v0
	s_mul_i32 s8, s15, 0xc00
	v_lshlrev_b32_e32 v9, 5, v0
	s_ashr_i32 s9, s8, 31
	s_mov_b32 s2, s15
	s_lshl_b64 s[8:9], s[8:9], 2
	s_waitcnt lgkmcnt(0)
	global_load_b128 v[49:52], v19, s[6:7]
	s_add_u32 s0, s0, s8
	s_addc_u32 s1, s1, s9
	s_clause 0x1
	global_load_b128 v[5:8], v9, s[0:1]
	global_load_b128 v[1:4], v9, s[0:1] offset:16
	v_add_co_u32 v20, s0, s0, v9
	s_delay_alu instid0(VALU_DEP_1)
	v_add_co_ci_u32_e64 v27, null, s1, 0, s0
	global_load_b128 v[53:56], v19, s[6:7] offset:2048
	v_add_co_u32 v17, vcc_lo, v20, 0x2000
	v_add_co_ci_u32_e32 v18, vcc_lo, 0, v27, vcc_lo
	v_add_co_u32 v9, vcc_lo, 0x1000, v20
	v_add_co_ci_u32_e32 v10, vcc_lo, 0, v27, vcc_lo
	global_load_b128 v[13:16], v[17:18], off offset:-4096
	v_add_co_u32 v29, s0, s6, v19
	global_load_b128 v[9:12], v[9:10], off offset:16
	v_add_co_ci_u32_e64 v30, null, s7, 0, s0
	v_add_co_u32 v25, vcc_lo, 0x1000, v29
	s_delay_alu instid0(VALU_DEP_2)
	v_add_co_ci_u32_e32 v26, vcc_lo, 0, v30, vcc_lo
	global_load_b128 v[57:60], v[25:26], off
	global_load_b128 v[21:24], v[17:18], off
	v_add_co_u32 v17, vcc_lo, 0x2000, v20
	v_add_co_ci_u32_e32 v18, vcc_lo, 0, v27, vcc_lo
	v_add_co_u32 v27, vcc_lo, 0x3000, v29
	v_add_co_ci_u32_e32 v28, vcc_lo, 0, v30, vcc_lo
	global_load_b128 v[17:20], v[17:18], off offset:16
	v_add_co_u32 v33, vcc_lo, 0x2000, v29
	v_add_co_ci_u32_e32 v34, vcc_lo, 0, v30, vcc_lo
	v_add_co_u32 v61, vcc_lo, v29, 0x4000
	v_add_co_ci_u32_e32 v62, vcc_lo, 0, v30, vcc_lo
	s_clause 0x5
	global_load_b128 v[45:48], v[25:26], off offset:2048
	global_load_b128 v[29:32], v[27:28], off offset:2048
	global_load_b128 v[41:44], v[33:34], off
	global_load_b128 v[37:40], v[33:34], off offset:2048
	global_load_b128 v[33:36], v[61:62], off offset:-4096
	global_load_b128 v[25:28], v[61:62], off
	s_waitcnt vmcnt(14)
	v_lshlrev_b32_e32 v61, 16, v49
	v_and_b32_e32 v49, 0xffff0000, v49
	s_waitcnt vmcnt(13)
	s_delay_alu instid0(VALU_DEP_2) | instskip(NEXT) | instid1(VALU_DEP_1)
	v_fma_f32 v61, v5, v61, 0
	v_dual_fmac_f32 v61, v6, v49 :: v_dual_lshlrev_b32 v62, 16, v50
	v_and_b32_e32 v49, 0xffff0000, v50
	s_delay_alu instid0(VALU_DEP_2) | instskip(NEXT) | instid1(VALU_DEP_1)
	v_dual_fmac_f32 v61, v7, v62 :: v_dual_lshlrev_b32 v50, 16, v51
	v_fmac_f32_e32 v61, v8, v49
	v_and_b32_e32 v49, 0xffff0000, v51
	s_waitcnt vmcnt(12)
	s_delay_alu instid0(VALU_DEP_2) | instskip(NEXT) | instid1(VALU_DEP_1)
	v_dual_fmac_f32 v61, v1, v50 :: v_dual_lshlrev_b32 v50, 16, v52
	v_fmac_f32_e32 v61, v2, v49
	v_and_b32_e32 v49, 0xffff0000, v52
	s_waitcnt vmcnt(8)
	v_and_b32_e32 v51, 0xffff0000, v60
	s_delay_alu instid0(VALU_DEP_3) | instskip(NEXT) | instid1(VALU_DEP_1)
	v_dual_fmac_f32 v61, v3, v50 :: v_dual_lshlrev_b32 v50, 16, v53
	v_fmac_f32_e32 v61, v4, v49
	v_and_b32_e32 v49, 0xffff0000, v53
	v_mbcnt_lo_u32_b32 v53, -1, 0
	s_delay_alu instid0(VALU_DEP_3) | instskip(NEXT) | instid1(VALU_DEP_1)
	v_fmac_f32_e32 v61, v13, v50
	v_dual_fmac_f32 v61, v14, v49 :: v_dual_lshlrev_b32 v50, 16, v54
	v_and_b32_e32 v49, 0xffff0000, v54
	s_delay_alu instid0(VALU_DEP_2) | instskip(NEXT) | instid1(VALU_DEP_1)
	v_dual_fmac_f32 v61, v15, v50 :: v_dual_lshlrev_b32 v50, 16, v55
	v_fmac_f32_e32 v61, v16, v49
	v_and_b32_e32 v49, 0xffff0000, v55
	s_delay_alu instid0(VALU_DEP_2) | instskip(NEXT) | instid1(VALU_DEP_1)
	v_dual_fmac_f32 v61, v9, v50 :: v_dual_lshlrev_b32 v50, 16, v56
	v_fmac_f32_e32 v61, v10, v49
	;; [unrolled: 4-line block ×3, first 2 shown]
	v_and_b32_e32 v49, 0xffff0000, v57
	v_lshrrev_b32_e32 v57, 5, v0
	s_waitcnt vmcnt(7)
	s_delay_alu instid0(VALU_DEP_3) | instskip(NEXT) | instid1(VALU_DEP_1)
	v_fmac_f32_e32 v61, v21, v50
	v_dual_fmac_f32 v61, v22, v49 :: v_dual_lshlrev_b32 v50, 16, v58
	v_and_b32_e32 v49, 0xffff0000, v58
	s_delay_alu instid0(VALU_DEP_2) | instskip(NEXT) | instid1(VALU_DEP_1)
	v_dual_fmac_f32 v61, v23, v50 :: v_dual_lshlrev_b32 v50, 16, v59
	v_fmac_f32_e32 v61, v24, v49
	v_and_b32_e32 v49, 0xffff0000, v59
	s_waitcnt vmcnt(6)
	s_delay_alu instid0(VALU_DEP_2) | instskip(NEXT) | instid1(VALU_DEP_1)
	v_dual_fmac_f32 v61, v17, v50 :: v_dual_lshlrev_b32 v50, 16, v60
	v_fmac_f32_e32 v61, v18, v49
	v_xor_b32_e32 v49, 16, v53
	s_delay_alu instid0(VALU_DEP_2) | instskip(NEXT) | instid1(VALU_DEP_2)
	v_fmac_f32_e32 v61, v19, v50
	v_cmp_gt_i32_e32 vcc_lo, 32, v49
	v_xor_b32_e32 v50, 8, v53
	s_delay_alu instid0(VALU_DEP_3) | instskip(SKIP_1) | instid1(VALU_DEP_3)
	v_fmac_f32_e32 v61, v20, v51
	v_cndmask_b32_e32 v49, v53, v49, vcc_lo
	v_cmp_gt_i32_e32 vcc_lo, 32, v50
	s_delay_alu instid0(VALU_DEP_2)
	v_dual_cndmask_b32 v50, v53, v50 :: v_dual_lshlrev_b32 v49, 2, v49
	ds_bpermute_b32 v51, v49, v61
	v_lshlrev_b32_e32 v50, 2, v50
	s_waitcnt lgkmcnt(0)
	v_add_f32_e32 v52, v61, v51
	v_xor_b32_e32 v51, 4, v53
	ds_bpermute_b32 v54, v50, v52
	v_cmp_gt_i32_e32 vcc_lo, 32, v51
	v_cndmask_b32_e32 v51, v53, v51, vcc_lo
	s_waitcnt lgkmcnt(0)
	s_delay_alu instid0(VALU_DEP_1)
	v_dual_add_f32 v54, v52, v54 :: v_dual_lshlrev_b32 v51, 2, v51
	v_xor_b32_e32 v52, 2, v53
	ds_bpermute_b32 v55, v51, v54
	v_cmp_gt_i32_e32 vcc_lo, 32, v52
	v_cndmask_b32_e32 v52, v53, v52, vcc_lo
	s_waitcnt lgkmcnt(0)
	s_delay_alu instid0(VALU_DEP_1) | instskip(SKIP_4) | instid1(VALU_DEP_1)
	v_dual_add_f32 v55, v54, v55 :: v_dual_lshlrev_b32 v52, 2, v52
	v_xor_b32_e32 v54, 1, v53
	ds_bpermute_b32 v56, v52, v55
	v_cmp_gt_i32_e32 vcc_lo, 32, v54
	v_cndmask_b32_e32 v53, v53, v54, vcc_lo
	v_lshlrev_b32_e32 v54, 2, v53
	v_and_b32_e32 v53, 31, v0
	s_delay_alu instid0(VALU_DEP_1)
	v_cmp_eq_u32_e32 vcc_lo, 0, v53
	v_lshlrev_b32_e32 v53, 2, v57
	s_waitcnt lgkmcnt(0)
	v_add_f32_e32 v55, v55, v56
	ds_bpermute_b32 v56, v54, v55
	s_and_saveexec_b32 s0, vcc_lo
	s_cbranch_execz .LBB34_2
; %bb.1:
	s_waitcnt lgkmcnt(0)
	v_add_f32_e32 v55, v55, v56
	ds_store_b32 v53, v55
.LBB34_2:
	s_or_b32 exec_lo, exec_lo, s0
	s_waitcnt vmcnt(5)
	v_lshlrev_b32_e32 v55, 16, v45
	v_and_b32_e32 v45, 0xffff0000, v45
	s_delay_alu instid0(VALU_DEP_2) | instskip(SKIP_1) | instid1(VALU_DEP_1)
	v_fma_f32 v55, v5, v55, 0
	s_waitcnt lgkmcnt(0)
	v_dual_fmac_f32 v55, v6, v45 :: v_dual_lshlrev_b32 v56, 16, v46
	v_and_b32_e32 v45, 0xffff0000, v46
	s_delay_alu instid0(VALU_DEP_2) | instskip(NEXT) | instid1(VALU_DEP_1)
	v_dual_fmac_f32 v55, v7, v56 :: v_dual_lshlrev_b32 v46, 16, v47
	v_fmac_f32_e32 v55, v8, v45
	v_and_b32_e32 v45, 0xffff0000, v47
	s_delay_alu instid0(VALU_DEP_2) | instskip(NEXT) | instid1(VALU_DEP_1)
	v_dual_fmac_f32 v55, v1, v46 :: v_dual_lshlrev_b32 v46, 16, v48
	v_fmac_f32_e32 v55, v2, v45
	v_and_b32_e32 v45, 0xffff0000, v48
	s_waitcnt vmcnt(3)
	s_delay_alu instid0(VALU_DEP_2) | instskip(SKIP_1) | instid1(VALU_DEP_2)
	v_dual_fmac_f32 v55, v3, v46 :: v_dual_lshlrev_b32 v46, 16, v41
	v_and_b32_e32 v41, 0xffff0000, v41
	v_fmac_f32_e32 v55, v4, v45
	v_lshlrev_b32_e32 v45, 16, v42
	s_delay_alu instid0(VALU_DEP_2) | instskip(NEXT) | instid1(VALU_DEP_1)
	v_fmac_f32_e32 v55, v13, v46
	v_fmac_f32_e32 v55, v14, v41
	v_and_b32_e32 v41, 0xffff0000, v42
	s_delay_alu instid0(VALU_DEP_2) | instskip(NEXT) | instid1(VALU_DEP_1)
	v_dual_fmac_f32 v55, v15, v45 :: v_dual_lshlrev_b32 v42, 16, v43
	v_fmac_f32_e32 v55, v16, v41
	v_and_b32_e32 v41, 0xffff0000, v43
	s_delay_alu instid0(VALU_DEP_2) | instskip(NEXT) | instid1(VALU_DEP_1)
	v_dual_fmac_f32 v55, v9, v42 :: v_dual_lshlrev_b32 v42, 16, v44
	v_fmac_f32_e32 v55, v10, v41
	v_and_b32_e32 v41, 0xffff0000, v44
	s_delay_alu instid0(VALU_DEP_2) | instskip(NEXT) | instid1(VALU_DEP_1)
	v_fmac_f32_e32 v55, v11, v42
	v_fmac_f32_e32 v55, v12, v41
	s_waitcnt vmcnt(2)
	v_lshlrev_b32_e32 v41, 16, v37
	v_and_b32_e32 v37, 0xffff0000, v37
	s_delay_alu instid0(VALU_DEP_2) | instskip(SKIP_1) | instid1(VALU_DEP_2)
	v_fmac_f32_e32 v55, v21, v41
	v_lshlrev_b32_e32 v41, 16, v38
	v_fmac_f32_e32 v55, v22, v37
	v_and_b32_e32 v37, 0xffff0000, v38
	s_delay_alu instid0(VALU_DEP_2) | instskip(NEXT) | instid1(VALU_DEP_1)
	v_dual_fmac_f32 v55, v23, v41 :: v_dual_lshlrev_b32 v38, 16, v39
	v_fmac_f32_e32 v55, v24, v37
	v_and_b32_e32 v37, 0xffff0000, v39
	s_delay_alu instid0(VALU_DEP_2) | instskip(NEXT) | instid1(VALU_DEP_1)
	v_dual_fmac_f32 v55, v17, v38 :: v_dual_lshlrev_b32 v38, 16, v40
	v_fmac_f32_e32 v55, v18, v37
	v_and_b32_e32 v37, 0xffff0000, v40
	s_delay_alu instid0(VALU_DEP_2) | instskip(NEXT) | instid1(VALU_DEP_1)
	v_fmac_f32_e32 v55, v19, v38
	v_fmac_f32_e32 v55, v20, v37
	ds_bpermute_b32 v37, v49, v55
	s_waitcnt lgkmcnt(0)
	v_add_f32_e32 v37, v55, v37
	ds_bpermute_b32 v38, v50, v37
	s_waitcnt lgkmcnt(0)
	v_add_f32_e32 v37, v37, v38
	ds_bpermute_b32 v38, v51, v37
	s_waitcnt lgkmcnt(0)
	v_add_f32_e32 v37, v37, v38
	ds_bpermute_b32 v38, v52, v37
	s_waitcnt lgkmcnt(0)
	v_add_f32_e32 v37, v37, v38
	ds_bpermute_b32 v38, v54, v37
	s_and_saveexec_b32 s0, vcc_lo
	s_cbranch_execz .LBB34_4
; %bb.3:
	s_waitcnt lgkmcnt(0)
	v_add_f32_e32 v37, v37, v38
	ds_store_b32 v53, v37 offset:16
.LBB34_4:
	s_or_b32 exec_lo, exec_lo, s0
	s_waitcnt vmcnt(1)
	v_lshlrev_b32_e32 v37, 16, v33
	v_and_b32_e32 v33, 0xffff0000, v33
	s_delay_alu instid0(VALU_DEP_2) | instskip(SKIP_1) | instid1(VALU_DEP_2)
	v_fma_f32 v5, v5, v37, 0
	v_lshlrev_b32_e32 v37, 16, v34
	v_dual_fmac_f32 v5, v6, v33 :: v_dual_and_b32 v6, 0xffff0000, v34
	s_delay_alu instid0(VALU_DEP_1) | instskip(SKIP_1) | instid1(VALU_DEP_2)
	v_fmac_f32_e32 v5, v7, v37
	v_lshlrev_b32_e32 v7, 16, v35
	v_dual_fmac_f32 v5, v8, v6 :: v_dual_and_b32 v6, 0xffff0000, v35
	s_delay_alu instid0(VALU_DEP_1) | instskip(SKIP_1) | instid1(VALU_DEP_2)
	v_fmac_f32_e32 v5, v1, v7
	;; [unrolled: 4-line block ×4, first 2 shown]
	v_lshlrev_b32_e32 v1, 16, v30
	v_fmac_f32_e32 v5, v14, v2
	s_delay_alu instid0(VALU_DEP_1) | instskip(SKIP_1) | instid1(VALU_DEP_2)
	v_dual_fmac_f32 v5, v15, v1 :: v_dual_and_b32 v2, 0xffff0000, v30
	v_lshlrev_b32_e32 v1, 16, v31
	v_dual_fmac_f32 v5, v16, v2 :: v_dual_and_b32 v2, 0xffff0000, v31
	s_delay_alu instid0(VALU_DEP_1) | instskip(SKIP_1) | instid1(VALU_DEP_2)
	v_fmac_f32_e32 v5, v9, v1
	v_lshlrev_b32_e32 v1, 16, v32
	v_dual_fmac_f32 v5, v10, v2 :: v_dual_and_b32 v2, 0xffff0000, v32
	s_delay_alu instid0(VALU_DEP_1) | instskip(SKIP_2) | instid1(VALU_DEP_2)
	v_fmac_f32_e32 v5, v11, v1
	s_waitcnt vmcnt(0)
	v_lshlrev_b32_e32 v1, 16, v25
	v_dual_fmac_f32 v5, v12, v2 :: v_dual_and_b32 v2, 0xffff0000, v25
	s_delay_alu instid0(VALU_DEP_1) | instskip(SKIP_1) | instid1(VALU_DEP_2)
	v_fmac_f32_e32 v5, v21, v1
	v_lshlrev_b32_e32 v1, 16, v26
	v_fmac_f32_e32 v5, v22, v2
	s_delay_alu instid0(VALU_DEP_1) | instskip(SKIP_1) | instid1(VALU_DEP_2)
	v_dual_fmac_f32 v5, v23, v1 :: v_dual_and_b32 v2, 0xffff0000, v26
	v_lshlrev_b32_e32 v1, 16, v27
	v_dual_fmac_f32 v5, v24, v2 :: v_dual_and_b32 v2, 0xffff0000, v27
	s_delay_alu instid0(VALU_DEP_1) | instskip(SKIP_1) | instid1(VALU_DEP_2)
	v_fmac_f32_e32 v5, v17, v1
	v_lshlrev_b32_e32 v1, 16, v28
	v_dual_fmac_f32 v5, v18, v2 :: v_dual_and_b32 v2, 0xffff0000, v28
	s_delay_alu instid0(VALU_DEP_1) | instskip(NEXT) | instid1(VALU_DEP_1)
	v_fmac_f32_e32 v5, v19, v1
	v_fmac_f32_e32 v5, v20, v2
	ds_bpermute_b32 v1, v49, v5
	s_waitcnt lgkmcnt(0)
	v_add_f32_e32 v1, v5, v1
	ds_bpermute_b32 v2, v50, v1
	s_waitcnt lgkmcnt(0)
	v_add_f32_e32 v1, v1, v2
	;; [unrolled: 3-line block ×4, first 2 shown]
	ds_bpermute_b32 v2, v54, v1
	s_and_saveexec_b32 s0, vcc_lo
	s_cbranch_execz .LBB34_6
; %bb.5:
	s_waitcnt lgkmcnt(0)
	v_add_f32_e32 v1, v1, v2
	ds_store_b32 v53, v1 offset:32
.LBB34_6:
	s_or_b32 exec_lo, exec_lo, s0
	s_waitcnt lgkmcnt(0)
	s_barrier
	buffer_gl0_inv
	s_mov_b32 s0, exec_lo
	v_cmpx_eq_u32_e32 0, v0
	s_cbranch_execz .LBB34_8
; %bb.7:
	v_mov_b32_e32 v12, 0
	s_ashr_i32 s3, s2, 31
	ds_load_b128 v[0:3], v12
	ds_load_b128 v[4:7], v12 offset:16
	ds_load_b128 v[8:11], v12 offset:32
	s_lshl_b64 s[0:1], s[2:3], 2
	s_delay_alu instid0(SALU_CYCLE_1)
	s_add_u32 s0, s4, s0
	s_addc_u32 s1, s5, s1
	s_waitcnt lgkmcnt(2)
	v_add_f32_e32 v0, 0, v0
	s_waitcnt lgkmcnt(1)
	v_add_f32_e32 v4, 0, v4
	;; [unrolled: 2-line block ×3, first 2 shown]
	v_add_f32_e32 v0, v0, v1
	s_delay_alu instid0(VALU_DEP_3) | instskip(NEXT) | instid1(VALU_DEP_3)
	v_add_f32_e32 v1, v4, v5
	v_add_f32_e32 v4, v8, v9
	s_delay_alu instid0(VALU_DEP_3) | instskip(NEXT) | instid1(VALU_DEP_3)
	v_add_f32_e32 v0, v0, v2
	;; [unrolled: 3-line block ×4, first 2 shown]
	v_add_f32_e32 v2, v2, v11
	s_clause 0x2
	global_store_b32 v12, v0, s[0:1]
	global_store_b32 v12, v1, s[0:1] offset:1024
	global_store_b32 v12, v2, s[0:1] offset:2048
.LBB34_8:
	s_nop 0
	s_sendmsg sendmsg(MSG_DEALLOC_VGPRS)
	s_endpgm
	.section	.rodata,"a",@progbits
	.p2align	6, 0x0
	.amdhsa_kernel _Z23fp32_router_gemm_kernelI14__hip_bfloat16Li128ELi3ELi256ELi3072EEvPfPKT_PKf
		.amdhsa_group_segment_fixed_size 48
		.amdhsa_private_segment_fixed_size 0
		.amdhsa_kernarg_size 24
		.amdhsa_user_sgpr_count 15
		.amdhsa_user_sgpr_dispatch_ptr 0
		.amdhsa_user_sgpr_queue_ptr 0
		.amdhsa_user_sgpr_kernarg_segment_ptr 1
		.amdhsa_user_sgpr_dispatch_id 0
		.amdhsa_user_sgpr_private_segment_size 0
		.amdhsa_wavefront_size32 1
		.amdhsa_uses_dynamic_stack 0
		.amdhsa_enable_private_segment 0
		.amdhsa_system_sgpr_workgroup_id_x 1
		.amdhsa_system_sgpr_workgroup_id_y 0
		.amdhsa_system_sgpr_workgroup_id_z 0
		.amdhsa_system_sgpr_workgroup_info 0
		.amdhsa_system_vgpr_workitem_id 0
		.amdhsa_next_free_vgpr 63
		.amdhsa_next_free_sgpr 16
		.amdhsa_reserve_vcc 1
		.amdhsa_float_round_mode_32 0
		.amdhsa_float_round_mode_16_64 0
		.amdhsa_float_denorm_mode_32 3
		.amdhsa_float_denorm_mode_16_64 3
		.amdhsa_dx10_clamp 1
		.amdhsa_ieee_mode 1
		.amdhsa_fp16_overflow 0
		.amdhsa_workgroup_processor_mode 1
		.amdhsa_memory_ordered 1
		.amdhsa_forward_progress 0
		.amdhsa_shared_vgpr_count 0
		.amdhsa_exception_fp_ieee_invalid_op 0
		.amdhsa_exception_fp_denorm_src 0
		.amdhsa_exception_fp_ieee_div_zero 0
		.amdhsa_exception_fp_ieee_overflow 0
		.amdhsa_exception_fp_ieee_underflow 0
		.amdhsa_exception_fp_ieee_inexact 0
		.amdhsa_exception_int_div_zero 0
	.end_amdhsa_kernel
	.section	.text._Z23fp32_router_gemm_kernelI14__hip_bfloat16Li128ELi3ELi256ELi3072EEvPfPKT_PKf,"axG",@progbits,_Z23fp32_router_gemm_kernelI14__hip_bfloat16Li128ELi3ELi256ELi3072EEvPfPKT_PKf,comdat
.Lfunc_end34:
	.size	_Z23fp32_router_gemm_kernelI14__hip_bfloat16Li128ELi3ELi256ELi3072EEvPfPKT_PKf, .Lfunc_end34-_Z23fp32_router_gemm_kernelI14__hip_bfloat16Li128ELi3ELi256ELi3072EEvPfPKT_PKf
                                        ; -- End function
	.section	.AMDGPU.csdata,"",@progbits
; Kernel info:
; codeLenInByte = 1880
; NumSgprs: 18
; NumVgprs: 63
; ScratchSize: 0
; MemoryBound: 0
; FloatMode: 240
; IeeeMode: 1
; LDSByteSize: 48 bytes/workgroup (compile time only)
; SGPRBlocks: 2
; VGPRBlocks: 7
; NumSGPRsForWavesPerEU: 18
; NumVGPRsForWavesPerEU: 63
; Occupancy: 16
; WaveLimiterHint : 1
; COMPUTE_PGM_RSRC2:SCRATCH_EN: 0
; COMPUTE_PGM_RSRC2:USER_SGPR: 15
; COMPUTE_PGM_RSRC2:TRAP_HANDLER: 0
; COMPUTE_PGM_RSRC2:TGID_X_EN: 1
; COMPUTE_PGM_RSRC2:TGID_Y_EN: 0
; COMPUTE_PGM_RSRC2:TGID_Z_EN: 0
; COMPUTE_PGM_RSRC2:TIDIG_COMP_CNT: 0
	.section	.text._Z23fp32_router_gemm_kernelI14__hip_bfloat16Li128ELi4ELi256ELi3072EEvPfPKT_PKf,"axG",@progbits,_Z23fp32_router_gemm_kernelI14__hip_bfloat16Li128ELi4ELi256ELi3072EEvPfPKT_PKf,comdat
	.protected	_Z23fp32_router_gemm_kernelI14__hip_bfloat16Li128ELi4ELi256ELi3072EEvPfPKT_PKf ; -- Begin function _Z23fp32_router_gemm_kernelI14__hip_bfloat16Li128ELi4ELi256ELi3072EEvPfPKT_PKf
	.globl	_Z23fp32_router_gemm_kernelI14__hip_bfloat16Li128ELi4ELi256ELi3072EEvPfPKT_PKf
	.p2align	8
	.type	_Z23fp32_router_gemm_kernelI14__hip_bfloat16Li128ELi4ELi256ELi3072EEvPfPKT_PKf,@function
_Z23fp32_router_gemm_kernelI14__hip_bfloat16Li128ELi4ELi256ELi3072EEvPfPKT_PKf: ; @_Z23fp32_router_gemm_kernelI14__hip_bfloat16Li128ELi4ELi256ELi3072EEvPfPKT_PKf
; %bb.0:
	s_clause 0x1
	s_load_b128 s[4:7], s[0:1], 0x0
	s_load_b64 s[0:1], s[0:1], 0x10
	v_lshlrev_b32_e32 v19, 4, v0
	s_mul_i32 s8, s15, 0xc00
	v_lshlrev_b32_e32 v9, 5, v0
	s_ashr_i32 s9, s8, 31
	s_mov_b32 s2, s15
	s_lshl_b64 s[8:9], s[8:9], 2
	s_waitcnt lgkmcnt(0)
	global_load_b128 v[61:64], v19, s[6:7]
	s_add_u32 s0, s0, s8
	s_addc_u32 s1, s1, s9
	s_clause 0x1
	global_load_b128 v[5:8], v9, s[0:1]
	global_load_b128 v[1:4], v9, s[0:1] offset:16
	v_add_co_u32 v20, s0, s0, v9
	s_delay_alu instid0(VALU_DEP_1)
	v_add_co_ci_u32_e64 v27, null, s1, 0, s0
	global_load_b128 v[65:68], v19, s[6:7] offset:2048
	v_add_co_u32 v17, vcc_lo, v20, 0x2000
	v_add_co_ci_u32_e32 v18, vcc_lo, 0, v27, vcc_lo
	v_add_co_u32 v9, vcc_lo, 0x1000, v20
	v_add_co_ci_u32_e32 v10, vcc_lo, 0, v27, vcc_lo
	global_load_b128 v[13:16], v[17:18], off offset:-4096
	v_add_co_u32 v33, s0, s6, v19
	global_load_b128 v[9:12], v[9:10], off offset:16
	v_add_co_ci_u32_e64 v34, null, s7, 0, s0
	v_add_co_u32 v25, vcc_lo, 0x1000, v33
	s_delay_alu instid0(VALU_DEP_2)
	v_add_co_ci_u32_e32 v26, vcc_lo, 0, v34, vcc_lo
	global_load_b128 v[69:72], v[25:26], off
	global_load_b128 v[21:24], v[17:18], off
	v_add_co_u32 v17, vcc_lo, 0x2000, v20
	v_add_co_ci_u32_e32 v18, vcc_lo, 0, v27, vcc_lo
	global_load_b128 v[17:20], v[17:18], off offset:16
	global_load_b128 v[57:60], v[25:26], off offset:2048
	v_add_co_u32 v25, vcc_lo, 0x3000, v33
	v_add_co_ci_u32_e32 v26, vcc_lo, 0, v34, vcc_lo
	v_add_co_u32 v27, vcc_lo, v33, 0x4000
	v_add_co_ci_u32_e32 v28, vcc_lo, 0, v34, vcc_lo
	;; [unrolled: 2-line block ×5, first 2 shown]
	s_clause 0x7
	global_load_b128 v[33:36], v[29:30], off offset:2048
	global_load_b128 v[41:44], v[25:26], off offset:2048
	global_load_b128 v[53:56], v[31:32], off
	global_load_b128 v[49:52], v[31:32], off offset:2048
	global_load_b128 v[45:48], v[27:28], off offset:-4096
	global_load_b128 v[37:40], v[27:28], off
	global_load_b128 v[29:32], v[73:74], off
	global_load_b128 v[25:28], v[73:74], off offset:2048
	s_waitcnt vmcnt(17)
	v_lshlrev_b32_e32 v73, 16, v61
	v_and_b32_e32 v61, 0xffff0000, v61
	s_waitcnt vmcnt(16)
	s_delay_alu instid0(VALU_DEP_2) | instskip(NEXT) | instid1(VALU_DEP_1)
	v_fma_f32 v73, v5, v73, 0
	v_dual_fmac_f32 v73, v6, v61 :: v_dual_lshlrev_b32 v74, 16, v62
	v_and_b32_e32 v61, 0xffff0000, v62
	s_delay_alu instid0(VALU_DEP_2) | instskip(NEXT) | instid1(VALU_DEP_1)
	v_dual_fmac_f32 v73, v7, v74 :: v_dual_lshlrev_b32 v62, 16, v63
	v_fmac_f32_e32 v73, v8, v61
	v_and_b32_e32 v61, 0xffff0000, v63
	s_waitcnt vmcnt(15)
	s_delay_alu instid0(VALU_DEP_2) | instskip(NEXT) | instid1(VALU_DEP_1)
	v_dual_fmac_f32 v73, v1, v62 :: v_dual_lshlrev_b32 v62, 16, v64
	v_fmac_f32_e32 v73, v2, v61
	v_and_b32_e32 v61, 0xffff0000, v64
	s_waitcnt vmcnt(11)
	v_and_b32_e32 v63, 0xffff0000, v72
	s_delay_alu instid0(VALU_DEP_3) | instskip(NEXT) | instid1(VALU_DEP_1)
	v_dual_fmac_f32 v73, v3, v62 :: v_dual_lshlrev_b32 v62, 16, v65
	v_fmac_f32_e32 v73, v4, v61
	v_and_b32_e32 v61, 0xffff0000, v65
	v_mbcnt_lo_u32_b32 v65, -1, 0
	s_delay_alu instid0(VALU_DEP_3) | instskip(NEXT) | instid1(VALU_DEP_1)
	v_fmac_f32_e32 v73, v13, v62
	v_dual_fmac_f32 v73, v14, v61 :: v_dual_lshlrev_b32 v62, 16, v66
	v_and_b32_e32 v61, 0xffff0000, v66
	s_delay_alu instid0(VALU_DEP_2) | instskip(NEXT) | instid1(VALU_DEP_1)
	v_dual_fmac_f32 v73, v15, v62 :: v_dual_lshlrev_b32 v62, 16, v67
	v_fmac_f32_e32 v73, v16, v61
	v_and_b32_e32 v61, 0xffff0000, v67
	s_delay_alu instid0(VALU_DEP_2) | instskip(NEXT) | instid1(VALU_DEP_1)
	v_dual_fmac_f32 v73, v9, v62 :: v_dual_lshlrev_b32 v62, 16, v68
	v_fmac_f32_e32 v73, v10, v61
	;; [unrolled: 4-line block ×3, first 2 shown]
	v_and_b32_e32 v61, 0xffff0000, v69
	v_lshrrev_b32_e32 v69, 5, v0
	s_waitcnt vmcnt(10)
	s_delay_alu instid0(VALU_DEP_3) | instskip(NEXT) | instid1(VALU_DEP_1)
	v_fmac_f32_e32 v73, v21, v62
	v_dual_fmac_f32 v73, v22, v61 :: v_dual_lshlrev_b32 v62, 16, v70
	v_and_b32_e32 v61, 0xffff0000, v70
	s_delay_alu instid0(VALU_DEP_2) | instskip(NEXT) | instid1(VALU_DEP_1)
	v_dual_fmac_f32 v73, v23, v62 :: v_dual_lshlrev_b32 v62, 16, v71
	v_fmac_f32_e32 v73, v24, v61
	v_and_b32_e32 v61, 0xffff0000, v71
	s_waitcnt vmcnt(9)
	s_delay_alu instid0(VALU_DEP_2) | instskip(NEXT) | instid1(VALU_DEP_1)
	v_dual_fmac_f32 v73, v17, v62 :: v_dual_lshlrev_b32 v62, 16, v72
	v_fmac_f32_e32 v73, v18, v61
	v_xor_b32_e32 v61, 16, v65
	s_delay_alu instid0(VALU_DEP_2) | instskip(NEXT) | instid1(VALU_DEP_2)
	v_fmac_f32_e32 v73, v19, v62
	v_cmp_gt_i32_e32 vcc_lo, 32, v61
	v_xor_b32_e32 v62, 8, v65
	s_delay_alu instid0(VALU_DEP_3) | instskip(SKIP_1) | instid1(VALU_DEP_3)
	v_fmac_f32_e32 v73, v20, v63
	v_cndmask_b32_e32 v61, v65, v61, vcc_lo
	v_cmp_gt_i32_e32 vcc_lo, 32, v62
	s_delay_alu instid0(VALU_DEP_2)
	v_dual_cndmask_b32 v62, v65, v62 :: v_dual_lshlrev_b32 v61, 2, v61
	ds_bpermute_b32 v63, v61, v73
	v_lshlrev_b32_e32 v62, 2, v62
	s_waitcnt lgkmcnt(0)
	v_add_f32_e32 v64, v73, v63
	v_xor_b32_e32 v63, 4, v65
	ds_bpermute_b32 v66, v62, v64
	v_cmp_gt_i32_e32 vcc_lo, 32, v63
	v_cndmask_b32_e32 v63, v65, v63, vcc_lo
	s_waitcnt lgkmcnt(0)
	s_delay_alu instid0(VALU_DEP_1)
	v_dual_add_f32 v66, v64, v66 :: v_dual_lshlrev_b32 v63, 2, v63
	v_xor_b32_e32 v64, 2, v65
	ds_bpermute_b32 v67, v63, v66
	v_cmp_gt_i32_e32 vcc_lo, 32, v64
	v_cndmask_b32_e32 v64, v65, v64, vcc_lo
	s_waitcnt lgkmcnt(0)
	s_delay_alu instid0(VALU_DEP_1) | instskip(SKIP_4) | instid1(VALU_DEP_1)
	v_dual_add_f32 v67, v66, v67 :: v_dual_lshlrev_b32 v64, 2, v64
	v_xor_b32_e32 v66, 1, v65
	ds_bpermute_b32 v68, v64, v67
	v_cmp_gt_i32_e32 vcc_lo, 32, v66
	v_cndmask_b32_e32 v65, v65, v66, vcc_lo
	v_lshlrev_b32_e32 v66, 2, v65
	v_and_b32_e32 v65, 31, v0
	s_delay_alu instid0(VALU_DEP_1)
	v_cmp_eq_u32_e32 vcc_lo, 0, v65
	v_lshlrev_b32_e32 v65, 2, v69
	s_waitcnt lgkmcnt(0)
	v_add_f32_e32 v67, v67, v68
	ds_bpermute_b32 v68, v66, v67
	s_and_saveexec_b32 s0, vcc_lo
	s_cbranch_execz .LBB35_2
; %bb.1:
	s_waitcnt lgkmcnt(0)
	v_add_f32_e32 v67, v67, v68
	ds_store_b32 v65, v67
.LBB35_2:
	s_or_b32 exec_lo, exec_lo, s0
	s_waitcnt vmcnt(8)
	v_lshlrev_b32_e32 v67, 16, v57
	v_and_b32_e32 v57, 0xffff0000, v57
	s_delay_alu instid0(VALU_DEP_2) | instskip(SKIP_1) | instid1(VALU_DEP_1)
	v_fma_f32 v67, v5, v67, 0
	s_waitcnt lgkmcnt(0)
	v_dual_fmac_f32 v67, v6, v57 :: v_dual_lshlrev_b32 v68, 16, v58
	v_and_b32_e32 v57, 0xffff0000, v58
	s_delay_alu instid0(VALU_DEP_2) | instskip(NEXT) | instid1(VALU_DEP_1)
	v_dual_fmac_f32 v67, v7, v68 :: v_dual_lshlrev_b32 v58, 16, v59
	v_fmac_f32_e32 v67, v8, v57
	v_and_b32_e32 v57, 0xffff0000, v59
	s_delay_alu instid0(VALU_DEP_2) | instskip(NEXT) | instid1(VALU_DEP_1)
	v_dual_fmac_f32 v67, v1, v58 :: v_dual_lshlrev_b32 v58, 16, v60
	v_fmac_f32_e32 v67, v2, v57
	v_and_b32_e32 v57, 0xffff0000, v60
	s_waitcnt vmcnt(5)
	s_delay_alu instid0(VALU_DEP_2) | instskip(SKIP_1) | instid1(VALU_DEP_2)
	v_dual_fmac_f32 v67, v3, v58 :: v_dual_lshlrev_b32 v58, 16, v53
	v_and_b32_e32 v53, 0xffff0000, v53
	v_fmac_f32_e32 v67, v4, v57
	v_lshlrev_b32_e32 v57, 16, v54
	s_delay_alu instid0(VALU_DEP_2) | instskip(NEXT) | instid1(VALU_DEP_1)
	v_fmac_f32_e32 v67, v13, v58
	v_fmac_f32_e32 v67, v14, v53
	v_and_b32_e32 v53, 0xffff0000, v54
	s_delay_alu instid0(VALU_DEP_2) | instskip(NEXT) | instid1(VALU_DEP_1)
	v_dual_fmac_f32 v67, v15, v57 :: v_dual_lshlrev_b32 v54, 16, v55
	v_fmac_f32_e32 v67, v16, v53
	v_and_b32_e32 v53, 0xffff0000, v55
	s_delay_alu instid0(VALU_DEP_2) | instskip(NEXT) | instid1(VALU_DEP_1)
	v_dual_fmac_f32 v67, v9, v54 :: v_dual_lshlrev_b32 v54, 16, v56
	v_fmac_f32_e32 v67, v10, v53
	v_and_b32_e32 v53, 0xffff0000, v56
	s_delay_alu instid0(VALU_DEP_2) | instskip(NEXT) | instid1(VALU_DEP_1)
	v_fmac_f32_e32 v67, v11, v54
	v_fmac_f32_e32 v67, v12, v53
	s_waitcnt vmcnt(4)
	v_lshlrev_b32_e32 v53, 16, v49
	v_and_b32_e32 v49, 0xffff0000, v49
	s_delay_alu instid0(VALU_DEP_2) | instskip(SKIP_1) | instid1(VALU_DEP_2)
	v_fmac_f32_e32 v67, v21, v53
	v_lshlrev_b32_e32 v53, 16, v50
	v_fmac_f32_e32 v67, v22, v49
	v_and_b32_e32 v49, 0xffff0000, v50
	s_delay_alu instid0(VALU_DEP_2) | instskip(NEXT) | instid1(VALU_DEP_1)
	v_dual_fmac_f32 v67, v23, v53 :: v_dual_lshlrev_b32 v50, 16, v51
	v_fmac_f32_e32 v67, v24, v49
	v_and_b32_e32 v49, 0xffff0000, v51
	s_delay_alu instid0(VALU_DEP_2) | instskip(NEXT) | instid1(VALU_DEP_1)
	v_dual_fmac_f32 v67, v17, v50 :: v_dual_lshlrev_b32 v50, 16, v52
	v_fmac_f32_e32 v67, v18, v49
	v_and_b32_e32 v49, 0xffff0000, v52
	s_delay_alu instid0(VALU_DEP_2) | instskip(NEXT) | instid1(VALU_DEP_1)
	v_fmac_f32_e32 v67, v19, v50
	v_fmac_f32_e32 v67, v20, v49
	ds_bpermute_b32 v49, v61, v67
	s_waitcnt lgkmcnt(0)
	v_add_f32_e32 v49, v67, v49
	ds_bpermute_b32 v50, v62, v49
	s_waitcnt lgkmcnt(0)
	v_add_f32_e32 v49, v49, v50
	;; [unrolled: 3-line block ×4, first 2 shown]
	ds_bpermute_b32 v50, v66, v49
	s_and_saveexec_b32 s0, vcc_lo
	s_cbranch_execz .LBB35_4
; %bb.3:
	s_waitcnt lgkmcnt(0)
	v_add_f32_e32 v49, v49, v50
	ds_store_b32 v65, v49 offset:16
.LBB35_4:
	s_or_b32 exec_lo, exec_lo, s0
	s_waitcnt vmcnt(3)
	v_lshlrev_b32_e32 v49, 16, v45
	v_and_b32_e32 v45, 0xffff0000, v45
	s_delay_alu instid0(VALU_DEP_2) | instskip(SKIP_1) | instid1(VALU_DEP_1)
	v_fma_f32 v49, v5, v49, 0
	s_waitcnt lgkmcnt(0)
	v_dual_fmac_f32 v49, v6, v45 :: v_dual_lshlrev_b32 v50, 16, v46
	v_and_b32_e32 v45, 0xffff0000, v46
	s_delay_alu instid0(VALU_DEP_2) | instskip(NEXT) | instid1(VALU_DEP_1)
	v_dual_fmac_f32 v49, v7, v50 :: v_dual_lshlrev_b32 v46, 16, v47
	v_fmac_f32_e32 v49, v8, v45
	v_and_b32_e32 v45, 0xffff0000, v47
	s_delay_alu instid0(VALU_DEP_2) | instskip(NEXT) | instid1(VALU_DEP_1)
	v_dual_fmac_f32 v49, v1, v46 :: v_dual_lshlrev_b32 v46, 16, v48
	v_fmac_f32_e32 v49, v2, v45
	v_and_b32_e32 v45, 0xffff0000, v48
	s_delay_alu instid0(VALU_DEP_2) | instskip(SKIP_1) | instid1(VALU_DEP_2)
	v_dual_fmac_f32 v49, v3, v46 :: v_dual_lshlrev_b32 v46, 16, v41
	v_and_b32_e32 v41, 0xffff0000, v41
	v_fmac_f32_e32 v49, v4, v45
	v_lshlrev_b32_e32 v45, 16, v42
	s_delay_alu instid0(VALU_DEP_2) | instskip(NEXT) | instid1(VALU_DEP_1)
	v_fmac_f32_e32 v49, v13, v46
	v_fmac_f32_e32 v49, v14, v41
	v_and_b32_e32 v41, 0xffff0000, v42
	s_delay_alu instid0(VALU_DEP_2) | instskip(NEXT) | instid1(VALU_DEP_1)
	v_dual_fmac_f32 v49, v15, v45 :: v_dual_lshlrev_b32 v42, 16, v43
	v_fmac_f32_e32 v49, v16, v41
	v_and_b32_e32 v41, 0xffff0000, v43
	s_delay_alu instid0(VALU_DEP_2) | instskip(NEXT) | instid1(VALU_DEP_1)
	v_dual_fmac_f32 v49, v9, v42 :: v_dual_lshlrev_b32 v42, 16, v44
	v_fmac_f32_e32 v49, v10, v41
	v_and_b32_e32 v41, 0xffff0000, v44
	s_delay_alu instid0(VALU_DEP_2) | instskip(NEXT) | instid1(VALU_DEP_1)
	v_fmac_f32_e32 v49, v11, v42
	v_fmac_f32_e32 v49, v12, v41
	s_waitcnt vmcnt(2)
	v_lshlrev_b32_e32 v41, 16, v37
	v_and_b32_e32 v37, 0xffff0000, v37
	s_delay_alu instid0(VALU_DEP_2) | instskip(SKIP_1) | instid1(VALU_DEP_2)
	v_fmac_f32_e32 v49, v21, v41
	v_lshlrev_b32_e32 v41, 16, v38
	v_fmac_f32_e32 v49, v22, v37
	v_and_b32_e32 v37, 0xffff0000, v38
	s_delay_alu instid0(VALU_DEP_2) | instskip(NEXT) | instid1(VALU_DEP_1)
	v_dual_fmac_f32 v49, v23, v41 :: v_dual_lshlrev_b32 v38, 16, v39
	v_fmac_f32_e32 v49, v24, v37
	v_and_b32_e32 v37, 0xffff0000, v39
	s_delay_alu instid0(VALU_DEP_2) | instskip(NEXT) | instid1(VALU_DEP_1)
	v_dual_fmac_f32 v49, v17, v38 :: v_dual_lshlrev_b32 v38, 16, v40
	v_fmac_f32_e32 v49, v18, v37
	v_and_b32_e32 v37, 0xffff0000, v40
	s_delay_alu instid0(VALU_DEP_2) | instskip(NEXT) | instid1(VALU_DEP_1)
	v_fmac_f32_e32 v49, v19, v38
	v_fmac_f32_e32 v49, v20, v37
	ds_bpermute_b32 v37, v61, v49
	s_waitcnt lgkmcnt(0)
	v_add_f32_e32 v37, v49, v37
	ds_bpermute_b32 v38, v62, v37
	s_waitcnt lgkmcnt(0)
	v_add_f32_e32 v37, v37, v38
	ds_bpermute_b32 v38, v63, v37
	s_waitcnt lgkmcnt(0)
	v_add_f32_e32 v37, v37, v38
	ds_bpermute_b32 v38, v64, v37
	s_waitcnt lgkmcnt(0)
	v_add_f32_e32 v37, v37, v38
	ds_bpermute_b32 v38, v66, v37
	s_and_saveexec_b32 s0, vcc_lo
	s_cbranch_execz .LBB35_6
; %bb.5:
	s_waitcnt lgkmcnt(0)
	v_add_f32_e32 v37, v37, v38
	ds_store_b32 v65, v37 offset:32
.LBB35_6:
	s_or_b32 exec_lo, exec_lo, s0
	v_lshlrev_b32_e32 v37, 16, v33
	v_and_b32_e32 v33, 0xffff0000, v33
	s_delay_alu instid0(VALU_DEP_2) | instskip(SKIP_1) | instid1(VALU_DEP_2)
	v_fma_f32 v5, v5, v37, 0
	v_lshlrev_b32_e32 v37, 16, v34
	v_dual_fmac_f32 v5, v6, v33 :: v_dual_and_b32 v6, 0xffff0000, v34
	s_delay_alu instid0(VALU_DEP_1) | instskip(SKIP_1) | instid1(VALU_DEP_2)
	v_fmac_f32_e32 v5, v7, v37
	v_lshlrev_b32_e32 v7, 16, v35
	v_dual_fmac_f32 v5, v8, v6 :: v_dual_and_b32 v6, 0xffff0000, v35
	s_delay_alu instid0(VALU_DEP_1) | instskip(SKIP_1) | instid1(VALU_DEP_2)
	v_fmac_f32_e32 v5, v1, v7
	v_lshlrev_b32_e32 v1, 16, v36
	v_dual_fmac_f32 v5, v2, v6 :: v_dual_and_b32 v2, 0xffff0000, v36
	s_delay_alu instid0(VALU_DEP_1) | instskip(SKIP_2) | instid1(VALU_DEP_2)
	v_fmac_f32_e32 v5, v3, v1
	s_waitcnt vmcnt(1)
	v_lshlrev_b32_e32 v1, 16, v29
	v_dual_fmac_f32 v5, v4, v2 :: v_dual_and_b32 v2, 0xffff0000, v29
	s_delay_alu instid0(VALU_DEP_1) | instskip(SKIP_1) | instid1(VALU_DEP_2)
	v_fmac_f32_e32 v5, v13, v1
	v_lshlrev_b32_e32 v1, 16, v30
	v_fmac_f32_e32 v5, v14, v2
	s_delay_alu instid0(VALU_DEP_1) | instskip(SKIP_1) | instid1(VALU_DEP_2)
	v_dual_fmac_f32 v5, v15, v1 :: v_dual_and_b32 v2, 0xffff0000, v30
	v_lshlrev_b32_e32 v1, 16, v31
	v_dual_fmac_f32 v5, v16, v2 :: v_dual_and_b32 v2, 0xffff0000, v31
	s_delay_alu instid0(VALU_DEP_1) | instskip(SKIP_1) | instid1(VALU_DEP_2)
	v_fmac_f32_e32 v5, v9, v1
	v_lshlrev_b32_e32 v1, 16, v32
	v_dual_fmac_f32 v5, v10, v2 :: v_dual_and_b32 v2, 0xffff0000, v32
	s_delay_alu instid0(VALU_DEP_1) | instskip(SKIP_2) | instid1(VALU_DEP_2)
	v_fmac_f32_e32 v5, v11, v1
	s_waitcnt vmcnt(0)
	v_lshlrev_b32_e32 v1, 16, v25
	v_dual_fmac_f32 v5, v12, v2 :: v_dual_and_b32 v2, 0xffff0000, v25
	s_delay_alu instid0(VALU_DEP_1) | instskip(SKIP_1) | instid1(VALU_DEP_2)
	v_fmac_f32_e32 v5, v21, v1
	v_lshlrev_b32_e32 v1, 16, v26
	v_fmac_f32_e32 v5, v22, v2
	s_delay_alu instid0(VALU_DEP_1) | instskip(SKIP_1) | instid1(VALU_DEP_2)
	v_dual_fmac_f32 v5, v23, v1 :: v_dual_and_b32 v2, 0xffff0000, v26
	v_lshlrev_b32_e32 v1, 16, v27
	v_dual_fmac_f32 v5, v24, v2 :: v_dual_and_b32 v2, 0xffff0000, v27
	s_delay_alu instid0(VALU_DEP_1) | instskip(SKIP_1) | instid1(VALU_DEP_2)
	v_fmac_f32_e32 v5, v17, v1
	v_lshlrev_b32_e32 v1, 16, v28
	v_dual_fmac_f32 v5, v18, v2 :: v_dual_and_b32 v2, 0xffff0000, v28
	s_delay_alu instid0(VALU_DEP_1) | instskip(NEXT) | instid1(VALU_DEP_1)
	v_fmac_f32_e32 v5, v19, v1
	v_fmac_f32_e32 v5, v20, v2
	ds_bpermute_b32 v1, v61, v5
	s_waitcnt lgkmcnt(0)
	v_add_f32_e32 v1, v5, v1
	ds_bpermute_b32 v2, v62, v1
	s_waitcnt lgkmcnt(0)
	v_add_f32_e32 v1, v1, v2
	;; [unrolled: 3-line block ×4, first 2 shown]
	ds_bpermute_b32 v2, v66, v1
	s_and_saveexec_b32 s0, vcc_lo
	s_cbranch_execz .LBB35_8
; %bb.7:
	s_waitcnt lgkmcnt(0)
	v_add_f32_e32 v1, v1, v2
	ds_store_b32 v65, v1 offset:48
.LBB35_8:
	s_or_b32 exec_lo, exec_lo, s0
	s_waitcnt lgkmcnt(0)
	s_barrier
	buffer_gl0_inv
	s_mov_b32 s0, exec_lo
	v_cmpx_eq_u32_e32 0, v0
	s_cbranch_execz .LBB35_10
; %bb.9:
	v_mov_b32_e32 v16, 0
	s_ashr_i32 s3, s2, 31
	ds_load_b128 v[0:3], v16
	ds_load_b128 v[4:7], v16 offset:16
	ds_load_b128 v[8:11], v16 offset:32
	;; [unrolled: 1-line block ×3, first 2 shown]
	s_lshl_b64 s[0:1], s[2:3], 2
	s_delay_alu instid0(SALU_CYCLE_1)
	s_add_u32 s0, s4, s0
	s_addc_u32 s1, s5, s1
	s_waitcnt lgkmcnt(2)
	v_add_f32_e32 v4, 0, v4
	s_waitcnt lgkmcnt(0)
	v_add_f32_e32 v12, 0, v12
	v_add_f32_e32 v0, 0, v0
	s_delay_alu instid0(VALU_DEP_1) | instskip(SKIP_1) | instid1(VALU_DEP_4)
	v_add_f32_e32 v0, v0, v1
	v_add_f32_e32 v1, v4, v5
	;; [unrolled: 1-line block ×3, first 2 shown]
	s_delay_alu instid0(VALU_DEP_3) | instskip(NEXT) | instid1(VALU_DEP_3)
	v_add_f32_e32 v0, v0, v2
	v_dual_add_f32 v1, v1, v6 :: v_dual_add_f32 v8, 0, v8
	s_delay_alu instid0(VALU_DEP_2) | instskip(NEXT) | instid1(VALU_DEP_2)
	v_add_f32_e32 v0, v0, v3
	v_dual_add_f32 v1, v1, v7 :: v_dual_add_f32 v4, v8, v9
	s_delay_alu instid0(VALU_DEP_1) | instskip(SKIP_1) | instid1(VALU_DEP_2)
	v_add_f32_e32 v2, v4, v10
	v_add_f32_e32 v4, v5, v14
	;; [unrolled: 1-line block ×3, first 2 shown]
	s_delay_alu instid0(VALU_DEP_2)
	v_add_f32_e32 v3, v4, v15
	s_clause 0x3
	global_store_b32 v16, v0, s[0:1]
	global_store_b32 v16, v1, s[0:1] offset:1024
	global_store_b32 v16, v2, s[0:1] offset:2048
	;; [unrolled: 1-line block ×3, first 2 shown]
.LBB35_10:
	s_nop 0
	s_sendmsg sendmsg(MSG_DEALLOC_VGPRS)
	s_endpgm
	.section	.rodata,"a",@progbits
	.p2align	6, 0x0
	.amdhsa_kernel _Z23fp32_router_gemm_kernelI14__hip_bfloat16Li128ELi4ELi256ELi3072EEvPfPKT_PKf
		.amdhsa_group_segment_fixed_size 64
		.amdhsa_private_segment_fixed_size 0
		.amdhsa_kernarg_size 24
		.amdhsa_user_sgpr_count 15
		.amdhsa_user_sgpr_dispatch_ptr 0
		.amdhsa_user_sgpr_queue_ptr 0
		.amdhsa_user_sgpr_kernarg_segment_ptr 1
		.amdhsa_user_sgpr_dispatch_id 0
		.amdhsa_user_sgpr_private_segment_size 0
		.amdhsa_wavefront_size32 1
		.amdhsa_uses_dynamic_stack 0
		.amdhsa_enable_private_segment 0
		.amdhsa_system_sgpr_workgroup_id_x 1
		.amdhsa_system_sgpr_workgroup_id_y 0
		.amdhsa_system_sgpr_workgroup_id_z 0
		.amdhsa_system_sgpr_workgroup_info 0
		.amdhsa_system_vgpr_workitem_id 0
		.amdhsa_next_free_vgpr 75
		.amdhsa_next_free_sgpr 16
		.amdhsa_reserve_vcc 1
		.amdhsa_float_round_mode_32 0
		.amdhsa_float_round_mode_16_64 0
		.amdhsa_float_denorm_mode_32 3
		.amdhsa_float_denorm_mode_16_64 3
		.amdhsa_dx10_clamp 1
		.amdhsa_ieee_mode 1
		.amdhsa_fp16_overflow 0
		.amdhsa_workgroup_processor_mode 1
		.amdhsa_memory_ordered 1
		.amdhsa_forward_progress 0
		.amdhsa_shared_vgpr_count 0
		.amdhsa_exception_fp_ieee_invalid_op 0
		.amdhsa_exception_fp_denorm_src 0
		.amdhsa_exception_fp_ieee_div_zero 0
		.amdhsa_exception_fp_ieee_overflow 0
		.amdhsa_exception_fp_ieee_underflow 0
		.amdhsa_exception_fp_ieee_inexact 0
		.amdhsa_exception_int_div_zero 0
	.end_amdhsa_kernel
	.section	.text._Z23fp32_router_gemm_kernelI14__hip_bfloat16Li128ELi4ELi256ELi3072EEvPfPKT_PKf,"axG",@progbits,_Z23fp32_router_gemm_kernelI14__hip_bfloat16Li128ELi4ELi256ELi3072EEvPfPKT_PKf,comdat
.Lfunc_end35:
	.size	_Z23fp32_router_gemm_kernelI14__hip_bfloat16Li128ELi4ELi256ELi3072EEvPfPKT_PKf, .Lfunc_end35-_Z23fp32_router_gemm_kernelI14__hip_bfloat16Li128ELi4ELi256ELi3072EEvPfPKT_PKf
                                        ; -- End function
	.section	.AMDGPU.csdata,"",@progbits
; Kernel info:
; codeLenInByte = 2372
; NumSgprs: 18
; NumVgprs: 75
; ScratchSize: 0
; MemoryBound: 0
; FloatMode: 240
; IeeeMode: 1
; LDSByteSize: 64 bytes/workgroup (compile time only)
; SGPRBlocks: 2
; VGPRBlocks: 9
; NumSGPRsForWavesPerEU: 18
; NumVGPRsForWavesPerEU: 75
; Occupancy: 16
; WaveLimiterHint : 1
; COMPUTE_PGM_RSRC2:SCRATCH_EN: 0
; COMPUTE_PGM_RSRC2:USER_SGPR: 15
; COMPUTE_PGM_RSRC2:TRAP_HANDLER: 0
; COMPUTE_PGM_RSRC2:TGID_X_EN: 1
; COMPUTE_PGM_RSRC2:TGID_Y_EN: 0
; COMPUTE_PGM_RSRC2:TGID_Z_EN: 0
; COMPUTE_PGM_RSRC2:TIDIG_COMP_CNT: 0
	.section	.text._Z23fp32_router_gemm_kernelI14__hip_bfloat16Li128ELi5ELi256ELi3072EEvPfPKT_PKf,"axG",@progbits,_Z23fp32_router_gemm_kernelI14__hip_bfloat16Li128ELi5ELi256ELi3072EEvPfPKT_PKf,comdat
	.protected	_Z23fp32_router_gemm_kernelI14__hip_bfloat16Li128ELi5ELi256ELi3072EEvPfPKT_PKf ; -- Begin function _Z23fp32_router_gemm_kernelI14__hip_bfloat16Li128ELi5ELi256ELi3072EEvPfPKT_PKf
	.globl	_Z23fp32_router_gemm_kernelI14__hip_bfloat16Li128ELi5ELi256ELi3072EEvPfPKT_PKf
	.p2align	8
	.type	_Z23fp32_router_gemm_kernelI14__hip_bfloat16Li128ELi5ELi256ELi3072EEvPfPKT_PKf,@function
_Z23fp32_router_gemm_kernelI14__hip_bfloat16Li128ELi5ELi256ELi3072EEvPfPKT_PKf: ; @_Z23fp32_router_gemm_kernelI14__hip_bfloat16Li128ELi5ELi256ELi3072EEvPfPKT_PKf
; %bb.0:
	s_clause 0x1
	s_load_b128 s[4:7], s[0:1], 0x0
	s_load_b64 s[0:1], s[0:1], 0x10
	v_lshlrev_b32_e32 v19, 4, v0
	s_mul_i32 s8, s15, 0xc00
	v_lshlrev_b32_e32 v9, 5, v0
	s_ashr_i32 s9, s8, 31
	s_mov_b32 s2, s15
	s_lshl_b64 s[8:9], s[8:9], 2
	s_waitcnt lgkmcnt(0)
	global_load_b128 v[73:76], v19, s[6:7]
	s_add_u32 s0, s0, s8
	s_addc_u32 s1, s1, s9
	s_clause 0x1
	global_load_b128 v[5:8], v9, s[0:1]
	global_load_b128 v[1:4], v9, s[0:1] offset:16
	v_add_co_u32 v20, s0, s0, v9
	s_delay_alu instid0(VALU_DEP_1)
	v_add_co_ci_u32_e64 v27, null, s1, 0, s0
	global_load_b128 v[77:80], v19, s[6:7] offset:2048
	v_add_co_u32 v17, vcc_lo, v20, 0x2000
	v_add_co_ci_u32_e32 v18, vcc_lo, 0, v27, vcc_lo
	v_add_co_u32 v9, vcc_lo, 0x1000, v20
	v_add_co_ci_u32_e32 v10, vcc_lo, 0, v27, vcc_lo
	global_load_b128 v[13:16], v[17:18], off offset:-4096
	v_add_co_u32 v35, s0, s6, v19
	global_load_b128 v[9:12], v[9:10], off offset:16
	v_add_co_ci_u32_e64 v36, null, s7, 0, s0
	v_add_co_u32 v25, vcc_lo, 0x1000, v35
	s_delay_alu instid0(VALU_DEP_2)
	v_add_co_ci_u32_e32 v26, vcc_lo, 0, v36, vcc_lo
	global_load_b128 v[81:84], v[25:26], off
	global_load_b128 v[21:24], v[17:18], off
	v_add_co_u32 v17, vcc_lo, 0x2000, v20
	v_add_co_ci_u32_e32 v18, vcc_lo, 0, v27, vcc_lo
	global_load_b128 v[17:20], v[17:18], off offset:16
	global_load_b128 v[69:72], v[25:26], off offset:2048
	v_add_co_u32 v25, vcc_lo, 0x3000, v35
	v_add_co_ci_u32_e32 v26, vcc_lo, 0, v36, vcc_lo
	v_add_co_u32 v29, vcc_lo, v35, 0x4000
	v_add_co_ci_u32_e32 v30, vcc_lo, 0, v36, vcc_lo
	;; [unrolled: 2-line block ×7, first 2 shown]
	s_clause 0xa
	global_load_b128 v[41:44], v[27:28], off offset:2048
	global_load_b128 v[53:56], v[25:26], off offset:2048
	;; [unrolled: 1-line block ×3, first 2 shown]
	global_load_b128 v[65:68], v[33:34], off
	global_load_b128 v[61:64], v[33:34], off offset:2048
	global_load_b128 v[57:60], v[29:30], off offset:-4096
	global_load_b128 v[49:52], v[29:30], off
	global_load_b128 v[45:48], v[35:36], off
	global_load_b128 v[37:40], v[35:36], off offset:2048
	global_load_b128 v[33:36], v[85:86], off offset:-4096
	global_load_b128 v[29:32], v[85:86], off
	s_waitcnt vmcnt(20)
	v_lshlrev_b32_e32 v85, 16, v73
	v_and_b32_e32 v73, 0xffff0000, v73
	s_waitcnt vmcnt(19)
	s_delay_alu instid0(VALU_DEP_2) | instskip(NEXT) | instid1(VALU_DEP_1)
	v_fma_f32 v85, v5, v85, 0
	v_dual_fmac_f32 v85, v6, v73 :: v_dual_lshlrev_b32 v86, 16, v74
	v_and_b32_e32 v73, 0xffff0000, v74
	s_delay_alu instid0(VALU_DEP_2) | instskip(NEXT) | instid1(VALU_DEP_1)
	v_dual_fmac_f32 v85, v7, v86 :: v_dual_lshlrev_b32 v74, 16, v75
	v_fmac_f32_e32 v85, v8, v73
	v_and_b32_e32 v73, 0xffff0000, v75
	s_waitcnt vmcnt(18)
	s_delay_alu instid0(VALU_DEP_2) | instskip(NEXT) | instid1(VALU_DEP_1)
	v_dual_fmac_f32 v85, v1, v74 :: v_dual_lshlrev_b32 v74, 16, v76
	v_fmac_f32_e32 v85, v2, v73
	v_and_b32_e32 v73, 0xffff0000, v76
	s_waitcnt vmcnt(14)
	v_and_b32_e32 v75, 0xffff0000, v84
	s_delay_alu instid0(VALU_DEP_3) | instskip(NEXT) | instid1(VALU_DEP_1)
	v_dual_fmac_f32 v85, v3, v74 :: v_dual_lshlrev_b32 v74, 16, v77
	v_fmac_f32_e32 v85, v4, v73
	v_and_b32_e32 v73, 0xffff0000, v77
	v_mbcnt_lo_u32_b32 v77, -1, 0
	s_delay_alu instid0(VALU_DEP_3) | instskip(NEXT) | instid1(VALU_DEP_1)
	v_fmac_f32_e32 v85, v13, v74
	v_dual_fmac_f32 v85, v14, v73 :: v_dual_lshlrev_b32 v74, 16, v78
	v_and_b32_e32 v73, 0xffff0000, v78
	s_delay_alu instid0(VALU_DEP_2) | instskip(NEXT) | instid1(VALU_DEP_1)
	v_dual_fmac_f32 v85, v15, v74 :: v_dual_lshlrev_b32 v74, 16, v79
	v_fmac_f32_e32 v85, v16, v73
	v_and_b32_e32 v73, 0xffff0000, v79
	s_delay_alu instid0(VALU_DEP_2) | instskip(NEXT) | instid1(VALU_DEP_1)
	v_dual_fmac_f32 v85, v9, v74 :: v_dual_lshlrev_b32 v74, 16, v80
	v_fmac_f32_e32 v85, v10, v73
	;; [unrolled: 4-line block ×3, first 2 shown]
	v_and_b32_e32 v73, 0xffff0000, v81
	v_lshrrev_b32_e32 v81, 5, v0
	s_waitcnt vmcnt(13)
	s_delay_alu instid0(VALU_DEP_3) | instskip(NEXT) | instid1(VALU_DEP_1)
	v_fmac_f32_e32 v85, v21, v74
	v_dual_fmac_f32 v85, v22, v73 :: v_dual_lshlrev_b32 v74, 16, v82
	v_and_b32_e32 v73, 0xffff0000, v82
	s_delay_alu instid0(VALU_DEP_2) | instskip(NEXT) | instid1(VALU_DEP_1)
	v_dual_fmac_f32 v85, v23, v74 :: v_dual_lshlrev_b32 v74, 16, v83
	v_fmac_f32_e32 v85, v24, v73
	v_and_b32_e32 v73, 0xffff0000, v83
	s_waitcnt vmcnt(12)
	s_delay_alu instid0(VALU_DEP_2) | instskip(NEXT) | instid1(VALU_DEP_1)
	v_dual_fmac_f32 v85, v17, v74 :: v_dual_lshlrev_b32 v74, 16, v84
	v_fmac_f32_e32 v85, v18, v73
	v_xor_b32_e32 v73, 16, v77
	s_delay_alu instid0(VALU_DEP_2) | instskip(NEXT) | instid1(VALU_DEP_2)
	v_fmac_f32_e32 v85, v19, v74
	v_cmp_gt_i32_e32 vcc_lo, 32, v73
	v_xor_b32_e32 v74, 8, v77
	s_delay_alu instid0(VALU_DEP_3) | instskip(SKIP_1) | instid1(VALU_DEP_3)
	v_fmac_f32_e32 v85, v20, v75
	v_cndmask_b32_e32 v73, v77, v73, vcc_lo
	v_cmp_gt_i32_e32 vcc_lo, 32, v74
	s_delay_alu instid0(VALU_DEP_2)
	v_dual_cndmask_b32 v74, v77, v74 :: v_dual_lshlrev_b32 v73, 2, v73
	ds_bpermute_b32 v75, v73, v85
	v_lshlrev_b32_e32 v74, 2, v74
	s_waitcnt lgkmcnt(0)
	v_add_f32_e32 v76, v85, v75
	v_xor_b32_e32 v75, 4, v77
	ds_bpermute_b32 v78, v74, v76
	v_cmp_gt_i32_e32 vcc_lo, 32, v75
	v_cndmask_b32_e32 v75, v77, v75, vcc_lo
	s_waitcnt lgkmcnt(0)
	s_delay_alu instid0(VALU_DEP_1)
	v_dual_add_f32 v78, v76, v78 :: v_dual_lshlrev_b32 v75, 2, v75
	v_xor_b32_e32 v76, 2, v77
	ds_bpermute_b32 v79, v75, v78
	v_cmp_gt_i32_e32 vcc_lo, 32, v76
	v_cndmask_b32_e32 v76, v77, v76, vcc_lo
	s_waitcnt lgkmcnt(0)
	s_delay_alu instid0(VALU_DEP_1) | instskip(SKIP_4) | instid1(VALU_DEP_1)
	v_dual_add_f32 v79, v78, v79 :: v_dual_lshlrev_b32 v76, 2, v76
	v_xor_b32_e32 v78, 1, v77
	ds_bpermute_b32 v80, v76, v79
	v_cmp_gt_i32_e32 vcc_lo, 32, v78
	v_cndmask_b32_e32 v77, v77, v78, vcc_lo
	v_lshlrev_b32_e32 v78, 2, v77
	v_and_b32_e32 v77, 31, v0
	s_delay_alu instid0(VALU_DEP_1)
	v_cmp_eq_u32_e32 vcc_lo, 0, v77
	v_lshlrev_b32_e32 v77, 2, v81
	s_waitcnt lgkmcnt(0)
	v_add_f32_e32 v79, v79, v80
	ds_bpermute_b32 v80, v78, v79
	s_and_saveexec_b32 s0, vcc_lo
	s_cbranch_execz .LBB36_2
; %bb.1:
	s_waitcnt lgkmcnt(0)
	v_add_f32_e32 v79, v79, v80
	ds_store_b32 v77, v79
.LBB36_2:
	s_or_b32 exec_lo, exec_lo, s0
	s_waitcnt vmcnt(11)
	v_lshlrev_b32_e32 v79, 16, v69
	v_and_b32_e32 v69, 0xffff0000, v69
	s_delay_alu instid0(VALU_DEP_2) | instskip(SKIP_1) | instid1(VALU_DEP_1)
	v_fma_f32 v79, v5, v79, 0
	s_waitcnt lgkmcnt(0)
	v_dual_fmac_f32 v79, v6, v69 :: v_dual_lshlrev_b32 v80, 16, v70
	v_and_b32_e32 v69, 0xffff0000, v70
	s_delay_alu instid0(VALU_DEP_2) | instskip(NEXT) | instid1(VALU_DEP_1)
	v_dual_fmac_f32 v79, v7, v80 :: v_dual_lshlrev_b32 v70, 16, v71
	v_fmac_f32_e32 v79, v8, v69
	v_and_b32_e32 v69, 0xffff0000, v71
	s_delay_alu instid0(VALU_DEP_2) | instskip(NEXT) | instid1(VALU_DEP_1)
	v_dual_fmac_f32 v79, v1, v70 :: v_dual_lshlrev_b32 v70, 16, v72
	v_fmac_f32_e32 v79, v2, v69
	v_and_b32_e32 v69, 0xffff0000, v72
	s_waitcnt vmcnt(7)
	s_delay_alu instid0(VALU_DEP_2) | instskip(SKIP_1) | instid1(VALU_DEP_2)
	v_dual_fmac_f32 v79, v3, v70 :: v_dual_lshlrev_b32 v70, 16, v65
	v_and_b32_e32 v65, 0xffff0000, v65
	v_fmac_f32_e32 v79, v4, v69
	v_lshlrev_b32_e32 v69, 16, v66
	s_delay_alu instid0(VALU_DEP_2) | instskip(NEXT) | instid1(VALU_DEP_1)
	v_fmac_f32_e32 v79, v13, v70
	v_fmac_f32_e32 v79, v14, v65
	v_and_b32_e32 v65, 0xffff0000, v66
	s_delay_alu instid0(VALU_DEP_2) | instskip(NEXT) | instid1(VALU_DEP_1)
	v_dual_fmac_f32 v79, v15, v69 :: v_dual_lshlrev_b32 v66, 16, v67
	v_fmac_f32_e32 v79, v16, v65
	v_and_b32_e32 v65, 0xffff0000, v67
	s_delay_alu instid0(VALU_DEP_2) | instskip(NEXT) | instid1(VALU_DEP_1)
	v_dual_fmac_f32 v79, v9, v66 :: v_dual_lshlrev_b32 v66, 16, v68
	v_fmac_f32_e32 v79, v10, v65
	v_and_b32_e32 v65, 0xffff0000, v68
	s_delay_alu instid0(VALU_DEP_2) | instskip(NEXT) | instid1(VALU_DEP_1)
	v_fmac_f32_e32 v79, v11, v66
	v_fmac_f32_e32 v79, v12, v65
	s_waitcnt vmcnt(6)
	v_lshlrev_b32_e32 v65, 16, v61
	v_and_b32_e32 v61, 0xffff0000, v61
	s_delay_alu instid0(VALU_DEP_2) | instskip(SKIP_1) | instid1(VALU_DEP_2)
	v_fmac_f32_e32 v79, v21, v65
	v_lshlrev_b32_e32 v65, 16, v62
	v_fmac_f32_e32 v79, v22, v61
	v_and_b32_e32 v61, 0xffff0000, v62
	s_delay_alu instid0(VALU_DEP_2) | instskip(NEXT) | instid1(VALU_DEP_1)
	v_dual_fmac_f32 v79, v23, v65 :: v_dual_lshlrev_b32 v62, 16, v63
	v_fmac_f32_e32 v79, v24, v61
	v_and_b32_e32 v61, 0xffff0000, v63
	s_delay_alu instid0(VALU_DEP_2) | instskip(NEXT) | instid1(VALU_DEP_1)
	v_dual_fmac_f32 v79, v17, v62 :: v_dual_lshlrev_b32 v62, 16, v64
	v_fmac_f32_e32 v79, v18, v61
	v_and_b32_e32 v61, 0xffff0000, v64
	s_delay_alu instid0(VALU_DEP_2) | instskip(NEXT) | instid1(VALU_DEP_1)
	v_fmac_f32_e32 v79, v19, v62
	v_fmac_f32_e32 v79, v20, v61
	ds_bpermute_b32 v61, v73, v79
	s_waitcnt lgkmcnt(0)
	v_add_f32_e32 v61, v79, v61
	ds_bpermute_b32 v62, v74, v61
	s_waitcnt lgkmcnt(0)
	v_add_f32_e32 v61, v61, v62
	;; [unrolled: 3-line block ×4, first 2 shown]
	ds_bpermute_b32 v62, v78, v61
	s_and_saveexec_b32 s0, vcc_lo
	s_cbranch_execz .LBB36_4
; %bb.3:
	s_waitcnt lgkmcnt(0)
	v_add_f32_e32 v61, v61, v62
	ds_store_b32 v77, v61 offset:16
.LBB36_4:
	s_or_b32 exec_lo, exec_lo, s0
	s_waitcnt vmcnt(5)
	v_lshlrev_b32_e32 v61, 16, v57
	v_and_b32_e32 v57, 0xffff0000, v57
	s_delay_alu instid0(VALU_DEP_2) | instskip(SKIP_1) | instid1(VALU_DEP_1)
	v_fma_f32 v61, v5, v61, 0
	s_waitcnt lgkmcnt(0)
	v_dual_fmac_f32 v61, v6, v57 :: v_dual_lshlrev_b32 v62, 16, v58
	v_and_b32_e32 v57, 0xffff0000, v58
	s_delay_alu instid0(VALU_DEP_2) | instskip(NEXT) | instid1(VALU_DEP_1)
	v_dual_fmac_f32 v61, v7, v62 :: v_dual_lshlrev_b32 v58, 16, v59
	v_fmac_f32_e32 v61, v8, v57
	v_and_b32_e32 v57, 0xffff0000, v59
	s_delay_alu instid0(VALU_DEP_2) | instskip(NEXT) | instid1(VALU_DEP_1)
	v_dual_fmac_f32 v61, v1, v58 :: v_dual_lshlrev_b32 v58, 16, v60
	v_fmac_f32_e32 v61, v2, v57
	v_and_b32_e32 v57, 0xffff0000, v60
	s_delay_alu instid0(VALU_DEP_2) | instskip(SKIP_1) | instid1(VALU_DEP_2)
	v_dual_fmac_f32 v61, v3, v58 :: v_dual_lshlrev_b32 v58, 16, v53
	v_and_b32_e32 v53, 0xffff0000, v53
	v_fmac_f32_e32 v61, v4, v57
	v_lshlrev_b32_e32 v57, 16, v54
	s_delay_alu instid0(VALU_DEP_2) | instskip(NEXT) | instid1(VALU_DEP_1)
	v_fmac_f32_e32 v61, v13, v58
	v_fmac_f32_e32 v61, v14, v53
	v_and_b32_e32 v53, 0xffff0000, v54
	s_delay_alu instid0(VALU_DEP_2) | instskip(NEXT) | instid1(VALU_DEP_1)
	v_dual_fmac_f32 v61, v15, v57 :: v_dual_lshlrev_b32 v54, 16, v55
	v_fmac_f32_e32 v61, v16, v53
	v_and_b32_e32 v53, 0xffff0000, v55
	s_delay_alu instid0(VALU_DEP_2) | instskip(NEXT) | instid1(VALU_DEP_1)
	v_dual_fmac_f32 v61, v9, v54 :: v_dual_lshlrev_b32 v54, 16, v56
	v_fmac_f32_e32 v61, v10, v53
	v_and_b32_e32 v53, 0xffff0000, v56
	s_delay_alu instid0(VALU_DEP_2) | instskip(NEXT) | instid1(VALU_DEP_1)
	v_fmac_f32_e32 v61, v11, v54
	v_fmac_f32_e32 v61, v12, v53
	s_waitcnt vmcnt(4)
	v_lshlrev_b32_e32 v53, 16, v49
	v_and_b32_e32 v49, 0xffff0000, v49
	s_delay_alu instid0(VALU_DEP_2) | instskip(SKIP_1) | instid1(VALU_DEP_2)
	v_fmac_f32_e32 v61, v21, v53
	v_lshlrev_b32_e32 v53, 16, v50
	v_fmac_f32_e32 v61, v22, v49
	v_and_b32_e32 v49, 0xffff0000, v50
	s_delay_alu instid0(VALU_DEP_2) | instskip(NEXT) | instid1(VALU_DEP_1)
	v_dual_fmac_f32 v61, v23, v53 :: v_dual_lshlrev_b32 v50, 16, v51
	v_fmac_f32_e32 v61, v24, v49
	v_and_b32_e32 v49, 0xffff0000, v51
	s_delay_alu instid0(VALU_DEP_2) | instskip(NEXT) | instid1(VALU_DEP_1)
	v_dual_fmac_f32 v61, v17, v50 :: v_dual_lshlrev_b32 v50, 16, v52
	v_fmac_f32_e32 v61, v18, v49
	v_and_b32_e32 v49, 0xffff0000, v52
	s_delay_alu instid0(VALU_DEP_2) | instskip(NEXT) | instid1(VALU_DEP_1)
	v_fmac_f32_e32 v61, v19, v50
	v_fmac_f32_e32 v61, v20, v49
	ds_bpermute_b32 v49, v73, v61
	s_waitcnt lgkmcnt(0)
	v_add_f32_e32 v49, v61, v49
	ds_bpermute_b32 v50, v74, v49
	s_waitcnt lgkmcnt(0)
	v_add_f32_e32 v49, v49, v50
	ds_bpermute_b32 v50, v75, v49
	s_waitcnt lgkmcnt(0)
	v_add_f32_e32 v49, v49, v50
	ds_bpermute_b32 v50, v76, v49
	s_waitcnt lgkmcnt(0)
	v_add_f32_e32 v49, v49, v50
	ds_bpermute_b32 v50, v78, v49
	s_and_saveexec_b32 s0, vcc_lo
	s_cbranch_execz .LBB36_6
; %bb.5:
	s_waitcnt lgkmcnt(0)
	v_add_f32_e32 v49, v49, v50
	ds_store_b32 v77, v49 offset:32
.LBB36_6:
	s_or_b32 exec_lo, exec_lo, s0
	v_lshlrev_b32_e32 v49, 16, v41
	v_and_b32_e32 v41, 0xffff0000, v41
	s_delay_alu instid0(VALU_DEP_2) | instskip(SKIP_1) | instid1(VALU_DEP_1)
	v_fma_f32 v49, v5, v49, 0
	s_waitcnt lgkmcnt(0)
	v_dual_fmac_f32 v49, v6, v41 :: v_dual_lshlrev_b32 v50, 16, v42
	v_and_b32_e32 v41, 0xffff0000, v42
	s_delay_alu instid0(VALU_DEP_2) | instskip(NEXT) | instid1(VALU_DEP_1)
	v_dual_fmac_f32 v49, v7, v50 :: v_dual_lshlrev_b32 v42, 16, v43
	v_fmac_f32_e32 v49, v8, v41
	v_and_b32_e32 v41, 0xffff0000, v43
	s_delay_alu instid0(VALU_DEP_2) | instskip(NEXT) | instid1(VALU_DEP_1)
	v_dual_fmac_f32 v49, v1, v42 :: v_dual_lshlrev_b32 v42, 16, v44
	v_fmac_f32_e32 v49, v2, v41
	v_and_b32_e32 v41, 0xffff0000, v44
	s_waitcnt vmcnt(3)
	s_delay_alu instid0(VALU_DEP_2) | instskip(NEXT) | instid1(VALU_DEP_1)
	v_dual_fmac_f32 v49, v3, v42 :: v_dual_lshlrev_b32 v42, 16, v45
	v_fmac_f32_e32 v49, v4, v41
	v_and_b32_e32 v41, 0xffff0000, v45
	s_delay_alu instid0(VALU_DEP_2) | instskip(NEXT) | instid1(VALU_DEP_1)
	v_fmac_f32_e32 v49, v13, v42
	v_dual_fmac_f32 v49, v14, v41 :: v_dual_lshlrev_b32 v42, 16, v46
	v_and_b32_e32 v41, 0xffff0000, v46
	s_delay_alu instid0(VALU_DEP_2) | instskip(NEXT) | instid1(VALU_DEP_1)
	v_dual_fmac_f32 v49, v15, v42 :: v_dual_lshlrev_b32 v42, 16, v47
	v_fmac_f32_e32 v49, v16, v41
	v_and_b32_e32 v41, 0xffff0000, v47
	s_delay_alu instid0(VALU_DEP_2) | instskip(NEXT) | instid1(VALU_DEP_1)
	v_dual_fmac_f32 v49, v9, v42 :: v_dual_lshlrev_b32 v42, 16, v48
	v_fmac_f32_e32 v49, v10, v41
	v_and_b32_e32 v41, 0xffff0000, v48
	s_delay_alu instid0(VALU_DEP_2) | instskip(NEXT) | instid1(VALU_DEP_1)
	v_fmac_f32_e32 v49, v11, v42
	v_fmac_f32_e32 v49, v12, v41
	s_waitcnt vmcnt(2)
	v_lshlrev_b32_e32 v41, 16, v37
	v_and_b32_e32 v37, 0xffff0000, v37
	s_delay_alu instid0(VALU_DEP_2) | instskip(SKIP_1) | instid1(VALU_DEP_2)
	v_fmac_f32_e32 v49, v21, v41
	v_lshlrev_b32_e32 v41, 16, v38
	v_fmac_f32_e32 v49, v22, v37
	v_and_b32_e32 v37, 0xffff0000, v38
	s_delay_alu instid0(VALU_DEP_2) | instskip(NEXT) | instid1(VALU_DEP_1)
	v_dual_fmac_f32 v49, v23, v41 :: v_dual_lshlrev_b32 v38, 16, v39
	v_fmac_f32_e32 v49, v24, v37
	v_and_b32_e32 v37, 0xffff0000, v39
	s_delay_alu instid0(VALU_DEP_2) | instskip(NEXT) | instid1(VALU_DEP_1)
	v_dual_fmac_f32 v49, v17, v38 :: v_dual_lshlrev_b32 v38, 16, v40
	v_fmac_f32_e32 v49, v18, v37
	v_and_b32_e32 v37, 0xffff0000, v40
	s_delay_alu instid0(VALU_DEP_2) | instskip(NEXT) | instid1(VALU_DEP_1)
	v_fmac_f32_e32 v49, v19, v38
	v_fmac_f32_e32 v49, v20, v37
	ds_bpermute_b32 v37, v73, v49
	s_waitcnt lgkmcnt(0)
	v_add_f32_e32 v37, v49, v37
	ds_bpermute_b32 v38, v74, v37
	s_waitcnt lgkmcnt(0)
	v_add_f32_e32 v37, v37, v38
	;; [unrolled: 3-line block ×4, first 2 shown]
	ds_bpermute_b32 v38, v78, v37
	s_and_saveexec_b32 s0, vcc_lo
	s_cbranch_execz .LBB36_8
; %bb.7:
	s_waitcnt lgkmcnt(0)
	v_add_f32_e32 v37, v37, v38
	ds_store_b32 v77, v37 offset:48
.LBB36_8:
	s_or_b32 exec_lo, exec_lo, s0
	s_waitcnt vmcnt(1)
	v_lshlrev_b32_e32 v37, 16, v33
	v_and_b32_e32 v33, 0xffff0000, v33
	s_delay_alu instid0(VALU_DEP_2) | instskip(SKIP_1) | instid1(VALU_DEP_2)
	v_fma_f32 v5, v5, v37, 0
	v_lshlrev_b32_e32 v37, 16, v34
	v_dual_fmac_f32 v5, v6, v33 :: v_dual_and_b32 v6, 0xffff0000, v34
	s_delay_alu instid0(VALU_DEP_1) | instskip(SKIP_1) | instid1(VALU_DEP_2)
	v_fmac_f32_e32 v5, v7, v37
	v_lshlrev_b32_e32 v7, 16, v35
	v_dual_fmac_f32 v5, v8, v6 :: v_dual_and_b32 v6, 0xffff0000, v35
	s_delay_alu instid0(VALU_DEP_1) | instskip(SKIP_1) | instid1(VALU_DEP_2)
	v_fmac_f32_e32 v5, v1, v7
	;; [unrolled: 4-line block ×4, first 2 shown]
	v_lshlrev_b32_e32 v1, 16, v26
	v_fmac_f32_e32 v5, v14, v2
	s_delay_alu instid0(VALU_DEP_1) | instskip(SKIP_1) | instid1(VALU_DEP_2)
	v_dual_fmac_f32 v5, v15, v1 :: v_dual_and_b32 v2, 0xffff0000, v26
	v_lshlrev_b32_e32 v1, 16, v27
	v_dual_fmac_f32 v5, v16, v2 :: v_dual_and_b32 v2, 0xffff0000, v27
	s_delay_alu instid0(VALU_DEP_1) | instskip(SKIP_1) | instid1(VALU_DEP_2)
	v_fmac_f32_e32 v5, v9, v1
	v_lshlrev_b32_e32 v1, 16, v28
	v_dual_fmac_f32 v5, v10, v2 :: v_dual_and_b32 v2, 0xffff0000, v28
	s_delay_alu instid0(VALU_DEP_1) | instskip(SKIP_2) | instid1(VALU_DEP_2)
	v_fmac_f32_e32 v5, v11, v1
	s_waitcnt vmcnt(0)
	v_lshlrev_b32_e32 v1, 16, v29
	v_dual_fmac_f32 v5, v12, v2 :: v_dual_and_b32 v2, 0xffff0000, v29
	s_delay_alu instid0(VALU_DEP_1) | instskip(SKIP_1) | instid1(VALU_DEP_2)
	v_fmac_f32_e32 v5, v21, v1
	v_lshlrev_b32_e32 v1, 16, v30
	v_fmac_f32_e32 v5, v22, v2
	s_delay_alu instid0(VALU_DEP_1) | instskip(SKIP_1) | instid1(VALU_DEP_2)
	v_dual_fmac_f32 v5, v23, v1 :: v_dual_and_b32 v2, 0xffff0000, v30
	v_lshlrev_b32_e32 v1, 16, v31
	v_dual_fmac_f32 v5, v24, v2 :: v_dual_and_b32 v2, 0xffff0000, v31
	s_delay_alu instid0(VALU_DEP_1) | instskip(SKIP_1) | instid1(VALU_DEP_2)
	v_fmac_f32_e32 v5, v17, v1
	v_lshlrev_b32_e32 v1, 16, v32
	v_dual_fmac_f32 v5, v18, v2 :: v_dual_and_b32 v2, 0xffff0000, v32
	s_delay_alu instid0(VALU_DEP_1) | instskip(NEXT) | instid1(VALU_DEP_1)
	v_fmac_f32_e32 v5, v19, v1
	v_fmac_f32_e32 v5, v20, v2
	ds_bpermute_b32 v1, v73, v5
	s_waitcnt lgkmcnt(0)
	v_add_f32_e32 v1, v5, v1
	ds_bpermute_b32 v2, v74, v1
	s_waitcnt lgkmcnt(0)
	v_add_f32_e32 v1, v1, v2
	;; [unrolled: 3-line block ×4, first 2 shown]
	ds_bpermute_b32 v2, v78, v1
	s_and_saveexec_b32 s0, vcc_lo
	s_cbranch_execz .LBB36_10
; %bb.9:
	s_waitcnt lgkmcnt(0)
	v_add_f32_e32 v1, v1, v2
	ds_store_b32 v77, v1 offset:64
.LBB36_10:
	s_or_b32 exec_lo, exec_lo, s0
	s_waitcnt lgkmcnt(0)
	s_barrier
	buffer_gl0_inv
	s_mov_b32 s0, exec_lo
	v_cmpx_eq_u32_e32 0, v0
	s_cbranch_execz .LBB36_12
; %bb.11:
	v_dual_mov_b32 v20, 0 :: v_dual_mov_b32 v21, 0x1000
	s_ashr_i32 s3, s2, 31
	ds_load_b128 v[0:3], v20
	ds_load_b128 v[4:7], v20 offset:16
	ds_load_b128 v[8:11], v20 offset:32
	;; [unrolled: 1-line block ×4, first 2 shown]
	s_lshl_b64 s[0:1], s[2:3], 2
	s_delay_alu instid0(SALU_CYCLE_1)
	s_add_u32 s0, s4, s0
	s_addc_u32 s1, s5, s1
	s_waitcnt lgkmcnt(1)
	v_add_f32_e32 v12, 0, v12
	v_add_f32_e32 v4, 0, v4
	;; [unrolled: 1-line block ×3, first 2 shown]
	s_delay_alu instid0(VALU_DEP_1) | instskip(NEXT) | instid1(VALU_DEP_3)
	v_add_f32_e32 v0, v0, v1
	v_dual_add_f32 v1, v4, v5 :: v_dual_add_f32 v8, 0, v8
	v_add_f32_e32 v5, v12, v13
	s_delay_alu instid0(VALU_DEP_3) | instskip(SKIP_1) | instid1(VALU_DEP_3)
	v_add_f32_e32 v0, v0, v2
	s_waitcnt lgkmcnt(0)
	v_dual_add_f32 v1, v1, v6 :: v_dual_add_f32 v16, 0, v16
	v_add_f32_e32 v4, v8, v9
	s_delay_alu instid0(VALU_DEP_3) | instskip(NEXT) | instid1(VALU_DEP_3)
	v_add_f32_e32 v0, v0, v3
	v_dual_add_f32 v1, v1, v7 :: v_dual_add_f32 v8, v16, v17
	s_delay_alu instid0(VALU_DEP_3) | instskip(SKIP_1) | instid1(VALU_DEP_2)
	v_add_f32_e32 v2, v4, v10
	v_add_f32_e32 v4, v5, v14
	v_dual_add_f32 v5, v8, v18 :: v_dual_add_f32 v2, v2, v11
	s_delay_alu instid0(VALU_DEP_2) | instskip(NEXT) | instid1(VALU_DEP_2)
	v_add_f32_e32 v3, v4, v15
	v_add_f32_e32 v4, v5, v19
	s_clause 0x4
	global_store_b32 v20, v0, s[0:1]
	global_store_b32 v20, v1, s[0:1] offset:1024
	global_store_b32 v20, v2, s[0:1] offset:2048
	global_store_b32 v20, v3, s[0:1] offset:3072
	global_store_b32 v21, v4, s[0:1]
.LBB36_12:
	s_nop 0
	s_sendmsg sendmsg(MSG_DEALLOC_VGPRS)
	s_endpgm
	.section	.rodata,"a",@progbits
	.p2align	6, 0x0
	.amdhsa_kernel _Z23fp32_router_gemm_kernelI14__hip_bfloat16Li128ELi5ELi256ELi3072EEvPfPKT_PKf
		.amdhsa_group_segment_fixed_size 80
		.amdhsa_private_segment_fixed_size 0
		.amdhsa_kernarg_size 24
		.amdhsa_user_sgpr_count 15
		.amdhsa_user_sgpr_dispatch_ptr 0
		.amdhsa_user_sgpr_queue_ptr 0
		.amdhsa_user_sgpr_kernarg_segment_ptr 1
		.amdhsa_user_sgpr_dispatch_id 0
		.amdhsa_user_sgpr_private_segment_size 0
		.amdhsa_wavefront_size32 1
		.amdhsa_uses_dynamic_stack 0
		.amdhsa_enable_private_segment 0
		.amdhsa_system_sgpr_workgroup_id_x 1
		.amdhsa_system_sgpr_workgroup_id_y 0
		.amdhsa_system_sgpr_workgroup_id_z 0
		.amdhsa_system_sgpr_workgroup_info 0
		.amdhsa_system_vgpr_workitem_id 0
		.amdhsa_next_free_vgpr 87
		.amdhsa_next_free_sgpr 16
		.amdhsa_reserve_vcc 1
		.amdhsa_float_round_mode_32 0
		.amdhsa_float_round_mode_16_64 0
		.amdhsa_float_denorm_mode_32 3
		.amdhsa_float_denorm_mode_16_64 3
		.amdhsa_dx10_clamp 1
		.amdhsa_ieee_mode 1
		.amdhsa_fp16_overflow 0
		.amdhsa_workgroup_processor_mode 1
		.amdhsa_memory_ordered 1
		.amdhsa_forward_progress 0
		.amdhsa_shared_vgpr_count 0
		.amdhsa_exception_fp_ieee_invalid_op 0
		.amdhsa_exception_fp_denorm_src 0
		.amdhsa_exception_fp_ieee_div_zero 0
		.amdhsa_exception_fp_ieee_overflow 0
		.amdhsa_exception_fp_ieee_underflow 0
		.amdhsa_exception_fp_ieee_inexact 0
		.amdhsa_exception_int_div_zero 0
	.end_amdhsa_kernel
	.section	.text._Z23fp32_router_gemm_kernelI14__hip_bfloat16Li128ELi5ELi256ELi3072EEvPfPKT_PKf,"axG",@progbits,_Z23fp32_router_gemm_kernelI14__hip_bfloat16Li128ELi5ELi256ELi3072EEvPfPKT_PKf,comdat
.Lfunc_end36:
	.size	_Z23fp32_router_gemm_kernelI14__hip_bfloat16Li128ELi5ELi256ELi3072EEvPfPKT_PKf, .Lfunc_end36-_Z23fp32_router_gemm_kernelI14__hip_bfloat16Li128ELi5ELi256ELi3072EEvPfPKT_PKf
                                        ; -- End function
	.section	.AMDGPU.csdata,"",@progbits
; Kernel info:
; codeLenInByte = 2872
; NumSgprs: 18
; NumVgprs: 87
; ScratchSize: 0
; MemoryBound: 0
; FloatMode: 240
; IeeeMode: 1
; LDSByteSize: 80 bytes/workgroup (compile time only)
; SGPRBlocks: 2
; VGPRBlocks: 10
; NumSGPRsForWavesPerEU: 18
; NumVGPRsForWavesPerEU: 87
; Occupancy: 16
; WaveLimiterHint : 1
; COMPUTE_PGM_RSRC2:SCRATCH_EN: 0
; COMPUTE_PGM_RSRC2:USER_SGPR: 15
; COMPUTE_PGM_RSRC2:TRAP_HANDLER: 0
; COMPUTE_PGM_RSRC2:TGID_X_EN: 1
; COMPUTE_PGM_RSRC2:TGID_Y_EN: 0
; COMPUTE_PGM_RSRC2:TGID_Z_EN: 0
; COMPUTE_PGM_RSRC2:TIDIG_COMP_CNT: 0
	.section	.text._Z23fp32_router_gemm_kernelI14__hip_bfloat16Li128ELi6ELi256ELi3072EEvPfPKT_PKf,"axG",@progbits,_Z23fp32_router_gemm_kernelI14__hip_bfloat16Li128ELi6ELi256ELi3072EEvPfPKT_PKf,comdat
	.protected	_Z23fp32_router_gemm_kernelI14__hip_bfloat16Li128ELi6ELi256ELi3072EEvPfPKT_PKf ; -- Begin function _Z23fp32_router_gemm_kernelI14__hip_bfloat16Li128ELi6ELi256ELi3072EEvPfPKT_PKf
	.globl	_Z23fp32_router_gemm_kernelI14__hip_bfloat16Li128ELi6ELi256ELi3072EEvPfPKT_PKf
	.p2align	8
	.type	_Z23fp32_router_gemm_kernelI14__hip_bfloat16Li128ELi6ELi256ELi3072EEvPfPKT_PKf,@function
_Z23fp32_router_gemm_kernelI14__hip_bfloat16Li128ELi6ELi256ELi3072EEvPfPKT_PKf: ; @_Z23fp32_router_gemm_kernelI14__hip_bfloat16Li128ELi6ELi256ELi3072EEvPfPKT_PKf
; %bb.0:
	s_clause 0x1
	s_load_b128 s[4:7], s[0:1], 0x0
	s_load_b64 s[0:1], s[0:1], 0x10
	v_lshlrev_b32_e32 v19, 4, v0
	s_mul_i32 s8, s15, 0xc00
	v_lshlrev_b32_e32 v9, 5, v0
	s_ashr_i32 s9, s8, 31
	s_mov_b32 s2, s15
	s_lshl_b64 s[8:9], s[8:9], 2
	s_waitcnt lgkmcnt(0)
	global_load_b128 v[25:28], v19, s[6:7]
	s_add_u32 s0, s0, s8
	s_addc_u32 s1, s1, s9
	s_clause 0x1
	global_load_b128 v[5:8], v9, s[0:1]
	global_load_b128 v[1:4], v9, s[0:1] offset:16
	global_load_b128 v[30:33], v19, s[6:7] offset:2048
	v_add_co_u32 v20, s0, s0, v9
	s_delay_alu instid0(VALU_DEP_1) | instskip(SKIP_1) | instid1(VALU_DEP_3)
	v_add_co_ci_u32_e64 v29, null, s1, 0, s0
	v_add_co_u32 v38, s0, s6, v19
	v_add_co_u32 v17, vcc_lo, v20, 0x2000
	s_delay_alu instid0(VALU_DEP_3)
	v_add_co_ci_u32_e32 v18, vcc_lo, 0, v29, vcc_lo
	v_add_co_u32 v9, vcc_lo, 0x1000, v20
	v_add_co_ci_u32_e64 v39, null, s7, 0, s0
	v_add_co_ci_u32_e32 v10, vcc_lo, 0, v29, vcc_lo
	v_add_co_u32 v34, vcc_lo, 0x1000, v38
	s_clause 0x1
	global_load_b128 v[13:16], v[17:18], off offset:-4096
	global_load_b128 v[9:12], v[9:10], off offset:16
	v_add_co_ci_u32_e32 v35, vcc_lo, 0, v39, vcc_lo
	global_load_b128 v[85:88], v[34:35], off
	global_load_b128 v[21:24], v[17:18], off
	v_add_co_u32 v17, vcc_lo, 0x2000, v20
	v_add_co_ci_u32_e32 v18, vcc_lo, 0, v29, vcc_lo
	global_load_b128 v[73:76], v[34:35], off offset:2048
	global_load_b128 v[17:20], v[17:18], off offset:16
	s_waitcnt vmcnt(9)
	v_lshlrev_b32_e32 v29, 16, v25
	v_and_b32_e32 v25, 0xffff0000, v25
	v_and_b32_e32 v36, 0xffff0000, v28
	s_waitcnt vmcnt(8)
	s_delay_alu instid0(VALU_DEP_3)
	v_fma_f32 v91, v5, v29, 0
	v_lshlrev_b32_e32 v29, 16, v26
	s_waitcnt vmcnt(6)
	v_lshlrev_b32_e32 v40, 16, v31
	v_and_b32_e32 v31, 0xffff0000, v31
	v_fmac_f32_e32 v91, v6, v25
	v_and_b32_e32 v25, 0xffff0000, v26
	v_lshlrev_b32_e32 v26, 16, v27
	v_and_b32_e32 v27, 0xffff0000, v27
	s_delay_alu instid0(VALU_DEP_4) | instskip(SKIP_1) | instid1(VALU_DEP_2)
	v_fmac_f32_e32 v91, v7, v29
	v_lshlrev_b32_e32 v29, 16, v28
	v_fmac_f32_e32 v91, v8, v25
	v_add_co_u32 v25, vcc_lo, 0x3000, v38
	s_delay_alu instid0(VALU_DEP_2) | instskip(SKIP_2) | instid1(VALU_DEP_3)
	v_fmac_f32_e32 v91, v1, v26
	v_add_co_ci_u32_e32 v26, vcc_lo, 0, v39, vcc_lo
	v_add_co_u32 v34, vcc_lo, v38, 0x4000
	v_fmac_f32_e32 v91, v2, v27
	v_add_co_ci_u32_e32 v35, vcc_lo, 0, v39, vcc_lo
	v_add_co_u32 v27, vcc_lo, 0x4000, v38
	s_delay_alu instid0(VALU_DEP_3) | instskip(SKIP_2) | instid1(VALU_DEP_3)
	v_fmac_f32_e32 v91, v3, v29
	v_add_co_ci_u32_e32 v28, vcc_lo, 0, v39, vcc_lo
	v_lshlrev_b32_e32 v29, 16, v30
	v_dual_fmac_f32 v91, v4, v36 :: v_dual_and_b32 v30, 0xffff0000, v30
	s_clause 0x1
	global_load_b128 v[53:56], v[27:28], off offset:2048
	global_load_b128 v[61:64], v[25:26], off offset:2048
	v_and_b32_e32 v26, 0xffff0000, v33
	s_waitcnt vmcnt(5)
	v_lshlrev_b32_e32 v93, 16, v88
	v_add_co_u32 v36, vcc_lo, 0x6000, v38
	v_dual_fmac_f32 v91, v13, v29 :: v_dual_lshlrev_b32 v92, 16, v87
	v_add_co_ci_u32_e32 v37, vcc_lo, 0, v39, vcc_lo
	v_lshlrev_b32_e32 v25, 16, v33
	s_delay_alu instid0(VALU_DEP_3) | instskip(SKIP_2) | instid1(VALU_DEP_3)
	v_fmac_f32_e32 v91, v14, v30
	v_add_co_u32 v41, vcc_lo, v38, 0x7000
	v_add_co_ci_u32_e32 v42, vcc_lo, 0, v39, vcc_lo
	v_fmac_f32_e32 v91, v15, v40
	v_lshlrev_b32_e32 v40, 16, v32
	v_add_co_u32 v29, vcc_lo, 0x7000, v38
	s_delay_alu instid0(VALU_DEP_3) | instskip(SKIP_3) | instid1(VALU_DEP_4)
	v_dual_fmac_f32 v91, v16, v31 :: v_dual_and_b32 v88, 0xffff0000, v88
	v_and_b32_e32 v31, 0xffff0000, v32
	v_add_co_ci_u32_e32 v30, vcc_lo, 0, v39, vcc_lo
	v_add_co_u32 v43, vcc_lo, 0x2000, v38
	v_fmac_f32_e32 v91, v9, v40
	v_add_co_ci_u32_e32 v44, vcc_lo, 0, v39, vcc_lo
	v_add_co_u32 v45, vcc_lo, 0x5000, v38
	s_delay_alu instid0(VALU_DEP_3) | instskip(SKIP_2) | instid1(VALU_DEP_3)
	v_fmac_f32_e32 v91, v10, v31
	v_add_co_ci_u32_e32 v46, vcc_lo, 0, v39, vcc_lo
	v_add_co_u32 v89, vcc_lo, 0x8000, v38
	v_fmac_f32_e32 v91, v11, v25
	v_lshlrev_b32_e32 v25, 16, v85
	v_add_co_ci_u32_e32 v90, vcc_lo, 0, v39, vcc_lo
	s_clause 0x3
	global_load_b128 v[29:32], v[29:30], off offset:2048
	global_load_b128 v[37:40], v[36:37], off offset:2048
	global_load_b128 v[81:84], v[43:44], off
	global_load_b128 v[77:80], v[43:44], off offset:2048
	v_dual_fmac_f32 v91, v12, v26 :: v_dual_and_b32 v26, 0xffff0000, v85
	s_clause 0x5
	global_load_b128 v[69:72], v[34:35], off offset:-4096
	global_load_b128 v[65:68], v[34:35], off
	global_load_b128 v[57:60], v[45:46], off
	global_load_b128 v[49:52], v[45:46], off offset:2048
	global_load_b128 v[45:48], v[41:42], off offset:-4096
	global_load_b128 v[41:44], v[41:42], off
	v_lshlrev_b32_e32 v85, 16, v86
	s_waitcnt vmcnt(14)
	v_dual_fmac_f32 v91, v21, v25 :: v_dual_and_b32 v86, 0xffff0000, v86
	v_and_b32_e32 v87, 0xffff0000, v87
	s_delay_alu instid0(VALU_DEP_2)
	v_fmac_f32_e32 v91, v22, v26
	s_clause 0x1
	global_load_b128 v[33:36], v[89:90], off
	global_load_b128 v[25:28], v[89:90], off offset:2048
	v_mbcnt_lo_u32_b32 v89, -1, 0
	v_fmac_f32_e32 v91, v23, v85
	s_delay_alu instid0(VALU_DEP_2) | instskip(SKIP_1) | instid1(VALU_DEP_3)
	v_xor_b32_e32 v85, 16, v89
	v_xor_b32_e32 v90, 4, v89
	v_fmac_f32_e32 v91, v24, v86
	v_xor_b32_e32 v86, 8, v89
	s_delay_alu instid0(VALU_DEP_4) | instskip(SKIP_1) | instid1(VALU_DEP_3)
	v_cmp_gt_i32_e32 vcc_lo, 32, v85
	s_waitcnt vmcnt(14)
	v_fmac_f32_e32 v91, v17, v92
	v_xor_b32_e32 v92, 1, v89
	v_cndmask_b32_e32 v85, v89, v85, vcc_lo
	v_cmp_gt_i32_e32 vcc_lo, 32, v86
	s_delay_alu instid0(VALU_DEP_4) | instskip(NEXT) | instid1(VALU_DEP_3)
	v_fmac_f32_e32 v91, v18, v87
	v_dual_cndmask_b32 v86, v89, v86 :: v_dual_lshlrev_b32 v85, 2, v85
	v_cmp_gt_i32_e32 vcc_lo, 32, v90
	s_delay_alu instid0(VALU_DEP_2) | instskip(NEXT) | instid1(VALU_DEP_1)
	v_dual_fmac_f32 v91, v19, v93 :: v_dual_lshlrev_b32 v86, 2, v86
	v_dual_cndmask_b32 v90, v89, v90 :: v_dual_fmac_f32 v91, v20, v88
	ds_bpermute_b32 v87, v85, v91
	s_waitcnt lgkmcnt(0)
	v_add_f32_e32 v87, v91, v87
	v_xor_b32_e32 v91, 2, v89
	ds_bpermute_b32 v88, v86, v87
	v_cmp_gt_i32_e32 vcc_lo, 32, v91
	s_waitcnt lgkmcnt(0)
	v_dual_add_f32 v88, v87, v88 :: v_dual_lshlrev_b32 v87, 2, v90
	v_cndmask_b32_e32 v90, v89, v91, vcc_lo
	v_cmp_gt_i32_e32 vcc_lo, 32, v92
	v_and_b32_e32 v91, 31, v0
	v_cndmask_b32_e32 v92, v89, v92, vcc_lo
	ds_bpermute_b32 v89, v87, v88
	v_cmp_eq_u32_e32 vcc_lo, 0, v91
	s_waitcnt lgkmcnt(0)
	v_dual_add_f32 v88, v88, v89 :: v_dual_lshlrev_b32 v89, 2, v90
	ds_bpermute_b32 v90, v89, v88
	s_waitcnt lgkmcnt(0)
	v_dual_add_f32 v91, v88, v90 :: v_dual_lshlrev_b32 v90, 2, v92
	v_lshrrev_b32_e32 v88, 5, v0
	ds_bpermute_b32 v92, v90, v91
	v_lshlrev_b32_e32 v88, 2, v88
	s_and_saveexec_b32 s0, vcc_lo
	s_cbranch_execz .LBB37_2
; %bb.1:
	s_waitcnt lgkmcnt(0)
	v_add_f32_e32 v91, v91, v92
	ds_store_b32 v88, v91
.LBB37_2:
	s_or_b32 exec_lo, exec_lo, s0
	v_lshlrev_b32_e32 v91, 16, v73
	v_and_b32_e32 v73, 0xffff0000, v73
	s_delay_alu instid0(VALU_DEP_2) | instskip(SKIP_1) | instid1(VALU_DEP_1)
	v_fma_f32 v91, v5, v91, 0
	s_waitcnt lgkmcnt(0)
	v_dual_fmac_f32 v91, v6, v73 :: v_dual_lshlrev_b32 v92, 16, v74
	v_and_b32_e32 v73, 0xffff0000, v74
	s_delay_alu instid0(VALU_DEP_2) | instskip(NEXT) | instid1(VALU_DEP_1)
	v_dual_fmac_f32 v91, v7, v92 :: v_dual_lshlrev_b32 v74, 16, v75
	v_fmac_f32_e32 v91, v8, v73
	v_and_b32_e32 v73, 0xffff0000, v75
	s_delay_alu instid0(VALU_DEP_2) | instskip(NEXT) | instid1(VALU_DEP_1)
	v_dual_fmac_f32 v91, v1, v74 :: v_dual_lshlrev_b32 v74, 16, v76
	v_fmac_f32_e32 v91, v2, v73
	v_and_b32_e32 v73, 0xffff0000, v76
	s_waitcnt vmcnt(9)
	s_delay_alu instid0(VALU_DEP_2) | instskip(NEXT) | instid1(VALU_DEP_1)
	v_dual_fmac_f32 v91, v3, v74 :: v_dual_lshlrev_b32 v74, 16, v81
	v_fmac_f32_e32 v91, v4, v73
	v_and_b32_e32 v73, 0xffff0000, v81
	s_delay_alu instid0(VALU_DEP_2) | instskip(NEXT) | instid1(VALU_DEP_1)
	v_fmac_f32_e32 v91, v13, v74
	v_dual_fmac_f32 v91, v14, v73 :: v_dual_lshlrev_b32 v74, 16, v82
	v_and_b32_e32 v73, 0xffff0000, v82
	s_delay_alu instid0(VALU_DEP_2) | instskip(NEXT) | instid1(VALU_DEP_1)
	v_dual_fmac_f32 v91, v15, v74 :: v_dual_lshlrev_b32 v74, 16, v83
	v_fmac_f32_e32 v91, v16, v73
	v_and_b32_e32 v73, 0xffff0000, v83
	s_delay_alu instid0(VALU_DEP_2) | instskip(NEXT) | instid1(VALU_DEP_1)
	v_dual_fmac_f32 v91, v9, v74 :: v_dual_lshlrev_b32 v74, 16, v84
	v_fmac_f32_e32 v91, v10, v73
	v_and_b32_e32 v73, 0xffff0000, v84
	s_waitcnt vmcnt(8)
	s_delay_alu instid0(VALU_DEP_2) | instskip(NEXT) | instid1(VALU_DEP_1)
	v_dual_fmac_f32 v91, v11, v74 :: v_dual_and_b32 v74, 0xffff0000, v77
	v_fmac_f32_e32 v91, v12, v73
	v_lshlrev_b32_e32 v73, 16, v77
	s_delay_alu instid0(VALU_DEP_1) | instskip(SKIP_1) | instid1(VALU_DEP_2)
	v_fmac_f32_e32 v91, v21, v73
	v_lshlrev_b32_e32 v73, 16, v78
	v_fmac_f32_e32 v91, v22, v74
	s_delay_alu instid0(VALU_DEP_1) | instskip(SKIP_1) | instid1(VALU_DEP_2)
	v_dual_fmac_f32 v91, v23, v73 :: v_dual_and_b32 v74, 0xffff0000, v78
	v_lshlrev_b32_e32 v73, 16, v79
	v_dual_fmac_f32 v91, v24, v74 :: v_dual_and_b32 v74, 0xffff0000, v79
	s_delay_alu instid0(VALU_DEP_1) | instskip(SKIP_1) | instid1(VALU_DEP_2)
	v_fmac_f32_e32 v91, v17, v73
	v_lshlrev_b32_e32 v73, 16, v80
	v_dual_fmac_f32 v91, v18, v74 :: v_dual_and_b32 v74, 0xffff0000, v80
	s_delay_alu instid0(VALU_DEP_1) | instskip(NEXT) | instid1(VALU_DEP_1)
	v_fmac_f32_e32 v91, v19, v73
	v_fmac_f32_e32 v91, v20, v74
	ds_bpermute_b32 v73, v85, v91
	s_waitcnt lgkmcnt(0)
	v_add_f32_e32 v73, v91, v73
	ds_bpermute_b32 v74, v86, v73
	s_waitcnt lgkmcnt(0)
	v_add_f32_e32 v73, v73, v74
	;; [unrolled: 3-line block ×4, first 2 shown]
	ds_bpermute_b32 v74, v90, v73
	s_and_saveexec_b32 s0, vcc_lo
	s_cbranch_execz .LBB37_4
; %bb.3:
	s_waitcnt lgkmcnt(0)
	v_add_f32_e32 v73, v73, v74
	ds_store_b32 v88, v73 offset:16
.LBB37_4:
	s_or_b32 exec_lo, exec_lo, s0
	s_waitcnt vmcnt(7)
	v_lshlrev_b32_e32 v73, 16, v69
	v_and_b32_e32 v69, 0xffff0000, v69
	s_delay_alu instid0(VALU_DEP_2) | instskip(SKIP_1) | instid1(VALU_DEP_1)
	v_fma_f32 v73, v5, v73, 0
	s_waitcnt lgkmcnt(0)
	v_dual_fmac_f32 v73, v6, v69 :: v_dual_lshlrev_b32 v74, 16, v70
	v_and_b32_e32 v69, 0xffff0000, v70
	s_delay_alu instid0(VALU_DEP_2) | instskip(NEXT) | instid1(VALU_DEP_1)
	v_dual_fmac_f32 v73, v7, v74 :: v_dual_lshlrev_b32 v70, 16, v71
	v_fmac_f32_e32 v73, v8, v69
	v_and_b32_e32 v69, 0xffff0000, v71
	s_delay_alu instid0(VALU_DEP_2) | instskip(NEXT) | instid1(VALU_DEP_1)
	v_dual_fmac_f32 v73, v1, v70 :: v_dual_lshlrev_b32 v70, 16, v72
	v_fmac_f32_e32 v73, v2, v69
	v_and_b32_e32 v69, 0xffff0000, v72
	s_delay_alu instid0(VALU_DEP_2) | instskip(SKIP_1) | instid1(VALU_DEP_2)
	v_dual_fmac_f32 v73, v3, v70 :: v_dual_lshlrev_b32 v70, 16, v61
	v_and_b32_e32 v61, 0xffff0000, v61
	v_fmac_f32_e32 v73, v4, v69
	v_lshlrev_b32_e32 v69, 16, v62
	s_delay_alu instid0(VALU_DEP_2) | instskip(NEXT) | instid1(VALU_DEP_1)
	v_fmac_f32_e32 v73, v13, v70
	v_fmac_f32_e32 v73, v14, v61
	v_and_b32_e32 v61, 0xffff0000, v62
	s_delay_alu instid0(VALU_DEP_2) | instskip(NEXT) | instid1(VALU_DEP_1)
	v_dual_fmac_f32 v73, v15, v69 :: v_dual_lshlrev_b32 v62, 16, v63
	v_fmac_f32_e32 v73, v16, v61
	v_and_b32_e32 v61, 0xffff0000, v63
	s_delay_alu instid0(VALU_DEP_2) | instskip(NEXT) | instid1(VALU_DEP_1)
	v_dual_fmac_f32 v73, v9, v62 :: v_dual_lshlrev_b32 v62, 16, v64
	v_fmac_f32_e32 v73, v10, v61
	v_and_b32_e32 v61, 0xffff0000, v64
	s_waitcnt vmcnt(6)
	s_delay_alu instid0(VALU_DEP_2) | instskip(NEXT) | instid1(VALU_DEP_1)
	v_dual_fmac_f32 v73, v11, v62 :: v_dual_and_b32 v62, 0xffff0000, v65
	v_fmac_f32_e32 v73, v12, v61
	v_lshlrev_b32_e32 v61, 16, v65
	s_delay_alu instid0(VALU_DEP_1) | instskip(SKIP_1) | instid1(VALU_DEP_2)
	v_fmac_f32_e32 v73, v21, v61
	v_lshlrev_b32_e32 v61, 16, v66
	v_fmac_f32_e32 v73, v22, v62
	s_delay_alu instid0(VALU_DEP_1) | instskip(SKIP_1) | instid1(VALU_DEP_2)
	v_dual_fmac_f32 v73, v23, v61 :: v_dual_and_b32 v62, 0xffff0000, v66
	v_lshlrev_b32_e32 v61, 16, v67
	v_dual_fmac_f32 v73, v24, v62 :: v_dual_and_b32 v62, 0xffff0000, v67
	s_delay_alu instid0(VALU_DEP_1) | instskip(SKIP_1) | instid1(VALU_DEP_2)
	v_fmac_f32_e32 v73, v17, v61
	v_lshlrev_b32_e32 v61, 16, v68
	v_dual_fmac_f32 v73, v18, v62 :: v_dual_and_b32 v62, 0xffff0000, v68
	s_delay_alu instid0(VALU_DEP_1) | instskip(NEXT) | instid1(VALU_DEP_1)
	v_fmac_f32_e32 v73, v19, v61
	v_fmac_f32_e32 v73, v20, v62
	ds_bpermute_b32 v61, v85, v73
	s_waitcnt lgkmcnt(0)
	v_add_f32_e32 v61, v73, v61
	ds_bpermute_b32 v62, v86, v61
	s_waitcnt lgkmcnt(0)
	v_add_f32_e32 v61, v61, v62
	;; [unrolled: 3-line block ×4, first 2 shown]
	ds_bpermute_b32 v62, v90, v61
	s_and_saveexec_b32 s0, vcc_lo
	s_cbranch_execz .LBB37_6
; %bb.5:
	s_waitcnt lgkmcnt(0)
	v_add_f32_e32 v61, v61, v62
	ds_store_b32 v88, v61 offset:32
.LBB37_6:
	s_or_b32 exec_lo, exec_lo, s0
	v_lshlrev_b32_e32 v61, 16, v53
	v_and_b32_e32 v53, 0xffff0000, v53
	s_delay_alu instid0(VALU_DEP_2) | instskip(SKIP_1) | instid1(VALU_DEP_1)
	v_fma_f32 v61, v5, v61, 0
	s_waitcnt lgkmcnt(0)
	v_dual_fmac_f32 v61, v6, v53 :: v_dual_lshlrev_b32 v62, 16, v54
	v_and_b32_e32 v53, 0xffff0000, v54
	s_delay_alu instid0(VALU_DEP_2) | instskip(NEXT) | instid1(VALU_DEP_1)
	v_dual_fmac_f32 v61, v7, v62 :: v_dual_lshlrev_b32 v54, 16, v55
	v_fmac_f32_e32 v61, v8, v53
	v_and_b32_e32 v53, 0xffff0000, v55
	s_delay_alu instid0(VALU_DEP_2) | instskip(NEXT) | instid1(VALU_DEP_1)
	v_dual_fmac_f32 v61, v1, v54 :: v_dual_lshlrev_b32 v54, 16, v56
	v_fmac_f32_e32 v61, v2, v53
	v_and_b32_e32 v53, 0xffff0000, v56
	s_waitcnt vmcnt(5)
	s_delay_alu instid0(VALU_DEP_2) | instskip(NEXT) | instid1(VALU_DEP_1)
	v_dual_fmac_f32 v61, v3, v54 :: v_dual_lshlrev_b32 v54, 16, v57
	v_fmac_f32_e32 v61, v4, v53
	v_and_b32_e32 v53, 0xffff0000, v57
	s_delay_alu instid0(VALU_DEP_2) | instskip(NEXT) | instid1(VALU_DEP_1)
	v_fmac_f32_e32 v61, v13, v54
	v_dual_fmac_f32 v61, v14, v53 :: v_dual_lshlrev_b32 v54, 16, v58
	v_and_b32_e32 v53, 0xffff0000, v58
	s_delay_alu instid0(VALU_DEP_2) | instskip(NEXT) | instid1(VALU_DEP_1)
	v_dual_fmac_f32 v61, v15, v54 :: v_dual_lshlrev_b32 v54, 16, v59
	v_fmac_f32_e32 v61, v16, v53
	v_and_b32_e32 v53, 0xffff0000, v59
	s_delay_alu instid0(VALU_DEP_2) | instskip(NEXT) | instid1(VALU_DEP_1)
	v_dual_fmac_f32 v61, v9, v54 :: v_dual_lshlrev_b32 v54, 16, v60
	v_fmac_f32_e32 v61, v10, v53
	v_and_b32_e32 v53, 0xffff0000, v60
	s_delay_alu instid0(VALU_DEP_2) | instskip(NEXT) | instid1(VALU_DEP_1)
	v_fmac_f32_e32 v61, v11, v54
	v_fmac_f32_e32 v61, v12, v53
	s_waitcnt vmcnt(4)
	v_lshlrev_b32_e32 v53, 16, v49
	v_and_b32_e32 v49, 0xffff0000, v49
	s_delay_alu instid0(VALU_DEP_2) | instskip(SKIP_1) | instid1(VALU_DEP_2)
	v_fmac_f32_e32 v61, v21, v53
	v_lshlrev_b32_e32 v53, 16, v50
	v_fmac_f32_e32 v61, v22, v49
	v_and_b32_e32 v49, 0xffff0000, v50
	s_delay_alu instid0(VALU_DEP_2) | instskip(NEXT) | instid1(VALU_DEP_1)
	v_dual_fmac_f32 v61, v23, v53 :: v_dual_lshlrev_b32 v50, 16, v51
	v_fmac_f32_e32 v61, v24, v49
	v_and_b32_e32 v49, 0xffff0000, v51
	s_delay_alu instid0(VALU_DEP_2) | instskip(NEXT) | instid1(VALU_DEP_1)
	v_dual_fmac_f32 v61, v17, v50 :: v_dual_lshlrev_b32 v50, 16, v52
	v_fmac_f32_e32 v61, v18, v49
	v_and_b32_e32 v49, 0xffff0000, v52
	s_delay_alu instid0(VALU_DEP_2) | instskip(NEXT) | instid1(VALU_DEP_1)
	v_fmac_f32_e32 v61, v19, v50
	v_fmac_f32_e32 v61, v20, v49
	ds_bpermute_b32 v49, v85, v61
	s_waitcnt lgkmcnt(0)
	v_add_f32_e32 v49, v61, v49
	ds_bpermute_b32 v50, v86, v49
	s_waitcnt lgkmcnt(0)
	v_add_f32_e32 v49, v49, v50
	;; [unrolled: 3-line block ×4, first 2 shown]
	ds_bpermute_b32 v50, v90, v49
	s_and_saveexec_b32 s0, vcc_lo
	s_cbranch_execz .LBB37_8
; %bb.7:
	s_waitcnt lgkmcnt(0)
	v_add_f32_e32 v49, v49, v50
	ds_store_b32 v88, v49 offset:48
.LBB37_8:
	s_or_b32 exec_lo, exec_lo, s0
	s_waitcnt vmcnt(3)
	v_lshlrev_b32_e32 v49, 16, v45
	v_and_b32_e32 v45, 0xffff0000, v45
	s_delay_alu instid0(VALU_DEP_2) | instskip(SKIP_1) | instid1(VALU_DEP_1)
	v_fma_f32 v49, v5, v49, 0
	s_waitcnt lgkmcnt(0)
	v_dual_fmac_f32 v49, v6, v45 :: v_dual_lshlrev_b32 v50, 16, v46
	v_and_b32_e32 v45, 0xffff0000, v46
	s_delay_alu instid0(VALU_DEP_2) | instskip(NEXT) | instid1(VALU_DEP_1)
	v_dual_fmac_f32 v49, v7, v50 :: v_dual_lshlrev_b32 v46, 16, v47
	v_fmac_f32_e32 v49, v8, v45
	v_and_b32_e32 v45, 0xffff0000, v47
	s_delay_alu instid0(VALU_DEP_2) | instskip(NEXT) | instid1(VALU_DEP_1)
	v_dual_fmac_f32 v49, v1, v46 :: v_dual_lshlrev_b32 v46, 16, v48
	v_fmac_f32_e32 v49, v2, v45
	v_and_b32_e32 v45, 0xffff0000, v48
	s_delay_alu instid0(VALU_DEP_2) | instskip(SKIP_1) | instid1(VALU_DEP_2)
	v_dual_fmac_f32 v49, v3, v46 :: v_dual_lshlrev_b32 v46, 16, v37
	v_and_b32_e32 v37, 0xffff0000, v37
	v_fmac_f32_e32 v49, v4, v45
	v_lshlrev_b32_e32 v45, 16, v38
	s_delay_alu instid0(VALU_DEP_2) | instskip(NEXT) | instid1(VALU_DEP_1)
	v_fmac_f32_e32 v49, v13, v46
	v_fmac_f32_e32 v49, v14, v37
	v_and_b32_e32 v37, 0xffff0000, v38
	s_delay_alu instid0(VALU_DEP_2) | instskip(NEXT) | instid1(VALU_DEP_1)
	v_dual_fmac_f32 v49, v15, v45 :: v_dual_lshlrev_b32 v38, 16, v39
	v_fmac_f32_e32 v49, v16, v37
	v_and_b32_e32 v37, 0xffff0000, v39
	s_delay_alu instid0(VALU_DEP_2) | instskip(NEXT) | instid1(VALU_DEP_1)
	v_dual_fmac_f32 v49, v9, v38 :: v_dual_lshlrev_b32 v38, 16, v40
	v_fmac_f32_e32 v49, v10, v37
	v_and_b32_e32 v37, 0xffff0000, v40
	s_waitcnt vmcnt(2)
	s_delay_alu instid0(VALU_DEP_2) | instskip(NEXT) | instid1(VALU_DEP_1)
	v_dual_fmac_f32 v49, v11, v38 :: v_dual_and_b32 v38, 0xffff0000, v41
	v_fmac_f32_e32 v49, v12, v37
	v_lshlrev_b32_e32 v37, 16, v41
	s_delay_alu instid0(VALU_DEP_1) | instskip(SKIP_1) | instid1(VALU_DEP_2)
	v_fmac_f32_e32 v49, v21, v37
	v_lshlrev_b32_e32 v37, 16, v42
	v_fmac_f32_e32 v49, v22, v38
	s_delay_alu instid0(VALU_DEP_1) | instskip(SKIP_1) | instid1(VALU_DEP_2)
	v_dual_fmac_f32 v49, v23, v37 :: v_dual_and_b32 v38, 0xffff0000, v42
	v_lshlrev_b32_e32 v37, 16, v43
	v_dual_fmac_f32 v49, v24, v38 :: v_dual_and_b32 v38, 0xffff0000, v43
	s_delay_alu instid0(VALU_DEP_1) | instskip(SKIP_1) | instid1(VALU_DEP_2)
	v_fmac_f32_e32 v49, v17, v37
	v_lshlrev_b32_e32 v37, 16, v44
	v_dual_fmac_f32 v49, v18, v38 :: v_dual_and_b32 v38, 0xffff0000, v44
	s_delay_alu instid0(VALU_DEP_1) | instskip(NEXT) | instid1(VALU_DEP_1)
	v_fmac_f32_e32 v49, v19, v37
	v_fmac_f32_e32 v49, v20, v38
	ds_bpermute_b32 v37, v85, v49
	s_waitcnt lgkmcnt(0)
	v_add_f32_e32 v37, v49, v37
	ds_bpermute_b32 v38, v86, v37
	s_waitcnt lgkmcnt(0)
	v_add_f32_e32 v37, v37, v38
	;; [unrolled: 3-line block ×4, first 2 shown]
	ds_bpermute_b32 v38, v90, v37
	s_and_saveexec_b32 s0, vcc_lo
	s_cbranch_execz .LBB37_10
; %bb.9:
	s_waitcnt lgkmcnt(0)
	v_add_f32_e32 v37, v37, v38
	ds_store_b32 v88, v37 offset:64
.LBB37_10:
	s_or_b32 exec_lo, exec_lo, s0
	v_lshlrev_b32_e32 v37, 16, v29
	v_and_b32_e32 v29, 0xffff0000, v29
	s_delay_alu instid0(VALU_DEP_2) | instskip(SKIP_1) | instid1(VALU_DEP_2)
	v_fma_f32 v5, v5, v37, 0
	v_lshlrev_b32_e32 v37, 16, v30
	v_dual_fmac_f32 v5, v6, v29 :: v_dual_and_b32 v6, 0xffff0000, v30
	s_delay_alu instid0(VALU_DEP_1) | instskip(SKIP_1) | instid1(VALU_DEP_2)
	v_fmac_f32_e32 v5, v7, v37
	v_lshlrev_b32_e32 v7, 16, v31
	v_dual_fmac_f32 v5, v8, v6 :: v_dual_and_b32 v6, 0xffff0000, v31
	s_delay_alu instid0(VALU_DEP_1) | instskip(SKIP_1) | instid1(VALU_DEP_2)
	v_fmac_f32_e32 v5, v1, v7
	v_lshlrev_b32_e32 v1, 16, v32
	v_dual_fmac_f32 v5, v2, v6 :: v_dual_and_b32 v2, 0xffff0000, v32
	s_delay_alu instid0(VALU_DEP_1) | instskip(SKIP_2) | instid1(VALU_DEP_2)
	v_fmac_f32_e32 v5, v3, v1
	s_waitcnt vmcnt(1)
	v_lshlrev_b32_e32 v1, 16, v33
	v_dual_fmac_f32 v5, v4, v2 :: v_dual_and_b32 v2, 0xffff0000, v33
	s_delay_alu instid0(VALU_DEP_1) | instskip(SKIP_1) | instid1(VALU_DEP_2)
	v_fmac_f32_e32 v5, v13, v1
	v_lshlrev_b32_e32 v1, 16, v34
	v_fmac_f32_e32 v5, v14, v2
	s_delay_alu instid0(VALU_DEP_1) | instskip(SKIP_1) | instid1(VALU_DEP_2)
	v_dual_fmac_f32 v5, v15, v1 :: v_dual_and_b32 v2, 0xffff0000, v34
	v_lshlrev_b32_e32 v1, 16, v35
	v_dual_fmac_f32 v5, v16, v2 :: v_dual_and_b32 v2, 0xffff0000, v35
	s_delay_alu instid0(VALU_DEP_1) | instskip(SKIP_1) | instid1(VALU_DEP_2)
	v_fmac_f32_e32 v5, v9, v1
	v_lshlrev_b32_e32 v1, 16, v36
	v_dual_fmac_f32 v5, v10, v2 :: v_dual_and_b32 v2, 0xffff0000, v36
	s_delay_alu instid0(VALU_DEP_1) | instskip(SKIP_2) | instid1(VALU_DEP_2)
	v_fmac_f32_e32 v5, v11, v1
	s_waitcnt vmcnt(0)
	v_lshlrev_b32_e32 v1, 16, v25
	v_dual_fmac_f32 v5, v12, v2 :: v_dual_and_b32 v2, 0xffff0000, v25
	s_delay_alu instid0(VALU_DEP_1) | instskip(SKIP_1) | instid1(VALU_DEP_2)
	v_fmac_f32_e32 v5, v21, v1
	v_lshlrev_b32_e32 v1, 16, v26
	v_fmac_f32_e32 v5, v22, v2
	s_delay_alu instid0(VALU_DEP_1) | instskip(SKIP_1) | instid1(VALU_DEP_2)
	v_dual_fmac_f32 v5, v23, v1 :: v_dual_and_b32 v2, 0xffff0000, v26
	v_lshlrev_b32_e32 v1, 16, v27
	v_dual_fmac_f32 v5, v24, v2 :: v_dual_and_b32 v2, 0xffff0000, v27
	s_delay_alu instid0(VALU_DEP_1) | instskip(SKIP_1) | instid1(VALU_DEP_2)
	v_fmac_f32_e32 v5, v17, v1
	v_lshlrev_b32_e32 v1, 16, v28
	v_dual_fmac_f32 v5, v18, v2 :: v_dual_and_b32 v2, 0xffff0000, v28
	s_delay_alu instid0(VALU_DEP_1) | instskip(NEXT) | instid1(VALU_DEP_1)
	v_fmac_f32_e32 v5, v19, v1
	v_fmac_f32_e32 v5, v20, v2
	ds_bpermute_b32 v1, v85, v5
	s_waitcnt lgkmcnt(0)
	v_add_f32_e32 v1, v5, v1
	ds_bpermute_b32 v2, v86, v1
	s_waitcnt lgkmcnt(0)
	v_add_f32_e32 v1, v1, v2
	ds_bpermute_b32 v2, v87, v1
	s_waitcnt lgkmcnt(0)
	v_add_f32_e32 v1, v1, v2
	ds_bpermute_b32 v2, v89, v1
	s_waitcnt lgkmcnt(0)
	v_add_f32_e32 v1, v1, v2
	ds_bpermute_b32 v2, v90, v1
	s_and_saveexec_b32 s0, vcc_lo
	s_cbranch_execz .LBB37_12
; %bb.11:
	s_waitcnt lgkmcnt(0)
	v_add_f32_e32 v1, v1, v2
	ds_store_b32 v88, v1 offset:80
.LBB37_12:
	s_or_b32 exec_lo, exec_lo, s0
	s_waitcnt lgkmcnt(0)
	s_barrier
	buffer_gl0_inv
	s_mov_b32 s0, exec_lo
	v_cmpx_eq_u32_e32 0, v0
	s_cbranch_execz .LBB37_14
; %bb.13:
	v_dual_mov_b32 v24, 0 :: v_dual_mov_b32 v25, 0x1000
	s_ashr_i32 s3, s2, 31
	ds_load_b128 v[0:3], v24
	ds_load_b128 v[4:7], v24 offset:16
	ds_load_b128 v[8:11], v24 offset:32
	;; [unrolled: 1-line block ×5, first 2 shown]
	s_lshl_b64 s[0:1], s[2:3], 2
	s_delay_alu instid0(SALU_CYCLE_1)
	s_add_u32 s0, s4, s0
	s_addc_u32 s1, s5, s1
	s_waitcnt lgkmcnt(2)
	v_add_f32_e32 v12, 0, v12
	v_add_f32_e32 v4, 0, v4
	;; [unrolled: 1-line block ×3, first 2 shown]
	s_waitcnt lgkmcnt(1)
	v_add_f32_e32 v16, 0, v16
	s_delay_alu instid0(VALU_DEP_2) | instskip(SKIP_1) | instid1(VALU_DEP_2)
	v_add_f32_e32 v0, v0, v1
	v_add_f32_e32 v1, v4, v5
	;; [unrolled: 1-line block ×3, first 2 shown]
	s_waitcnt lgkmcnt(0)
	s_delay_alu instid0(VALU_DEP_2) | instskip(SKIP_1) | instid1(VALU_DEP_3)
	v_dual_add_f32 v1, v1, v6 :: v_dual_add_f32 v20, 0, v20
	v_add_f32_e32 v5, v12, v13
	v_add_f32_e32 v0, v0, v3
	s_delay_alu instid0(VALU_DEP_3) | instskip(NEXT) | instid1(VALU_DEP_1)
	v_dual_add_f32 v1, v1, v7 :: v_dual_add_f32 v8, 0, v8
	v_add_f32_e32 v4, v8, v9
	v_add_f32_e32 v9, v20, v21
	;; [unrolled: 1-line block ×3, first 2 shown]
	s_delay_alu instid0(VALU_DEP_3) | instskip(SKIP_1) | instid1(VALU_DEP_3)
	v_add_f32_e32 v2, v4, v10
	v_add_f32_e32 v4, v5, v14
	;; [unrolled: 1-line block ×4, first 2 shown]
	s_delay_alu instid0(VALU_DEP_4) | instskip(NEXT) | instid1(VALU_DEP_4)
	v_add_f32_e32 v2, v2, v11
	v_add_f32_e32 v3, v4, v15
	s_delay_alu instid0(VALU_DEP_4) | instskip(NEXT) | instid1(VALU_DEP_4)
	v_add_f32_e32 v4, v5, v19
	v_add_f32_e32 v5, v6, v23
	s_clause 0x5
	global_store_b32 v24, v0, s[0:1]
	global_store_b32 v24, v1, s[0:1] offset:1024
	global_store_b32 v24, v2, s[0:1] offset:2048
	;; [unrolled: 1-line block ×3, first 2 shown]
	global_store_b32 v25, v4, s[0:1]
	global_store_b32 v25, v5, s[0:1] offset:1024
.LBB37_14:
	s_nop 0
	s_sendmsg sendmsg(MSG_DEALLOC_VGPRS)
	s_endpgm
	.section	.rodata,"a",@progbits
	.p2align	6, 0x0
	.amdhsa_kernel _Z23fp32_router_gemm_kernelI14__hip_bfloat16Li128ELi6ELi256ELi3072EEvPfPKT_PKf
		.amdhsa_group_segment_fixed_size 96
		.amdhsa_private_segment_fixed_size 0
		.amdhsa_kernarg_size 24
		.amdhsa_user_sgpr_count 15
		.amdhsa_user_sgpr_dispatch_ptr 0
		.amdhsa_user_sgpr_queue_ptr 0
		.amdhsa_user_sgpr_kernarg_segment_ptr 1
		.amdhsa_user_sgpr_dispatch_id 0
		.amdhsa_user_sgpr_private_segment_size 0
		.amdhsa_wavefront_size32 1
		.amdhsa_uses_dynamic_stack 0
		.amdhsa_enable_private_segment 0
		.amdhsa_system_sgpr_workgroup_id_x 1
		.amdhsa_system_sgpr_workgroup_id_y 0
		.amdhsa_system_sgpr_workgroup_id_z 0
		.amdhsa_system_sgpr_workgroup_info 0
		.amdhsa_system_vgpr_workitem_id 0
		.amdhsa_next_free_vgpr 94
		.amdhsa_next_free_sgpr 16
		.amdhsa_reserve_vcc 1
		.amdhsa_float_round_mode_32 0
		.amdhsa_float_round_mode_16_64 0
		.amdhsa_float_denorm_mode_32 3
		.amdhsa_float_denorm_mode_16_64 3
		.amdhsa_dx10_clamp 1
		.amdhsa_ieee_mode 1
		.amdhsa_fp16_overflow 0
		.amdhsa_workgroup_processor_mode 1
		.amdhsa_memory_ordered 1
		.amdhsa_forward_progress 0
		.amdhsa_shared_vgpr_count 0
		.amdhsa_exception_fp_ieee_invalid_op 0
		.amdhsa_exception_fp_denorm_src 0
		.amdhsa_exception_fp_ieee_div_zero 0
		.amdhsa_exception_fp_ieee_overflow 0
		.amdhsa_exception_fp_ieee_underflow 0
		.amdhsa_exception_fp_ieee_inexact 0
		.amdhsa_exception_int_div_zero 0
	.end_amdhsa_kernel
	.section	.text._Z23fp32_router_gemm_kernelI14__hip_bfloat16Li128ELi6ELi256ELi3072EEvPfPKT_PKf,"axG",@progbits,_Z23fp32_router_gemm_kernelI14__hip_bfloat16Li128ELi6ELi256ELi3072EEvPfPKT_PKf,comdat
.Lfunc_end37:
	.size	_Z23fp32_router_gemm_kernelI14__hip_bfloat16Li128ELi6ELi256ELi3072EEvPfPKT_PKf, .Lfunc_end37-_Z23fp32_router_gemm_kernelI14__hip_bfloat16Li128ELi6ELi256ELi3072EEvPfPKT_PKf
                                        ; -- End function
	.section	.AMDGPU.csdata,"",@progbits
; Kernel info:
; codeLenInByte = 3364
; NumSgprs: 18
; NumVgprs: 94
; ScratchSize: 0
; MemoryBound: 0
; FloatMode: 240
; IeeeMode: 1
; LDSByteSize: 96 bytes/workgroup (compile time only)
; SGPRBlocks: 2
; VGPRBlocks: 11
; NumSGPRsForWavesPerEU: 18
; NumVGPRsForWavesPerEU: 94
; Occupancy: 16
; WaveLimiterHint : 1
; COMPUTE_PGM_RSRC2:SCRATCH_EN: 0
; COMPUTE_PGM_RSRC2:USER_SGPR: 15
; COMPUTE_PGM_RSRC2:TRAP_HANDLER: 0
; COMPUTE_PGM_RSRC2:TGID_X_EN: 1
; COMPUTE_PGM_RSRC2:TGID_Y_EN: 0
; COMPUTE_PGM_RSRC2:TGID_Z_EN: 0
; COMPUTE_PGM_RSRC2:TIDIG_COMP_CNT: 0
	.section	.text._Z23fp32_router_gemm_kernelI14__hip_bfloat16Li128ELi7ELi256ELi3072EEvPfPKT_PKf,"axG",@progbits,_Z23fp32_router_gemm_kernelI14__hip_bfloat16Li128ELi7ELi256ELi3072EEvPfPKT_PKf,comdat
	.protected	_Z23fp32_router_gemm_kernelI14__hip_bfloat16Li128ELi7ELi256ELi3072EEvPfPKT_PKf ; -- Begin function _Z23fp32_router_gemm_kernelI14__hip_bfloat16Li128ELi7ELi256ELi3072EEvPfPKT_PKf
	.globl	_Z23fp32_router_gemm_kernelI14__hip_bfloat16Li128ELi7ELi256ELi3072EEvPfPKT_PKf
	.p2align	8
	.type	_Z23fp32_router_gemm_kernelI14__hip_bfloat16Li128ELi7ELi256ELi3072EEvPfPKT_PKf,@function
_Z23fp32_router_gemm_kernelI14__hip_bfloat16Li128ELi7ELi256ELi3072EEvPfPKT_PKf: ; @_Z23fp32_router_gemm_kernelI14__hip_bfloat16Li128ELi7ELi256ELi3072EEvPfPKT_PKf
; %bb.0:
	s_clause 0x1
	s_load_b64 s[6:7], s[0:1], 0x10
	s_load_b128 s[0:3], s[0:1], 0x0
	v_dual_mov_b32 v3, 0 :: v_dual_lshlrev_b32 v8, 3, v0
	s_mul_i32 s8, s15, 0xc00
	v_dual_mov_b32 v7, 0 :: v_dual_mov_b32 v6, 0
	s_ashr_i32 s9, s8, 31
	v_dual_mov_b32 v5, 0 :: v_dual_mov_b32 v4, 0
	v_dual_mov_b32 v2, 0 :: v_dual_mov_b32 v1, 0
	s_lshl_b64 s[8:9], s[8:9], 2
	v_or_b32_e32 v9, 0x400, v8
	v_or_b32_e32 v10, 0x800, v8
	s_mov_b32 s4, s15
	s_waitcnt lgkmcnt(0)
	s_add_u32 s6, s6, s8
	s_addc_u32 s7, s7, s9
	s_mov_b64 s[8:9], 0
.LBB38_1:                               ; =>This Inner Loop Header: Depth=1
	s_delay_alu instid0(SALU_CYCLE_1)
	s_cmp_eq_u32 s8, 1
	s_cselect_b32 vcc_lo, -1, 0
	s_cmp_eq_u32 s8, 2
	v_cndmask_b32_e32 v11, v8, v9, vcc_lo
	s_cselect_b32 vcc_lo, -1, 0
	s_add_u32 s8, s8, 1
	s_addc_u32 s9, s9, 0
	s_cmp_eq_u32 s8, 3
	v_cndmask_b32_e32 v11, v11, v10, vcc_lo
	s_delay_alu instid0(VALU_DEP_1) | instskip(NEXT) | instid1(VALU_DEP_1)
	v_lshlrev_b32_e32 v15, 1, v11
	v_add_co_u32 v21, s5, s2, v15
	global_load_b128 v[15:18], v15, s[2:3]
	v_add_co_ci_u32_e64 v22, null, s3, 0, s5
	v_add_co_u32 v19, vcc_lo, 0x1000, v21
	s_delay_alu instid0(VALU_DEP_2)
	v_add_co_ci_u32_e32 v20, vcc_lo, 0, v22, vcc_lo
	v_add_co_u32 v23, vcc_lo, 0x3000, v21
	v_add_co_ci_u32_e32 v24, vcc_lo, 0, v22, vcc_lo
	v_add_co_u32 v27, vcc_lo, 0x4000, v21
	;; [unrolled: 2-line block ×5, first 2 shown]
	v_add_co_ci_u32_e32 v40, vcc_lo, 0, v22, vcc_lo
	s_waitcnt vmcnt(0)
	v_lshlrev_b32_e32 v48, 16, v16
	v_and_b32_e32 v16, 0xffff0000, v16
	v_lshlrev_b32_e32 v43, 2, v11
	global_load_b128 v[11:14], v43, s[6:7]
	s_clause 0x5
	global_load_b128 v[19:22], v[19:20], off offset:2048
	global_load_b128 v[23:26], v[23:24], off
	global_load_b128 v[27:30], v[27:28], off offset:2048
	global_load_b128 v[31:34], v[31:32], off
	;; [unrolled: 2-line block ×3, first 2 shown]
	global_load_b128 v[43:46], v43, s[6:7] offset:16
	s_waitcnt vmcnt(2)
	v_lshlrev_b32_e32 v67, 16, v37
	v_lshlrev_b32_e32 v59, 16, v29
	v_and_b32_e32 v29, 0xffff0000, v29
	v_lshlrev_b32_e32 v57, 16, v27
	s_waitcnt vmcnt(1)
	v_lshlrev_b32_e32 v69, 16, v39
	v_lshlrev_b32_e32 v54, 16, v24
	v_and_b32_e32 v37, 0xffff0000, v37
	v_and_b32_e32 v27, 0xffff0000, v27
	v_lshlrev_b32_e32 v68, 16, v38
	v_and_b32_e32 v38, 0xffff0000, v38
	v_lshlrev_b32_e32 v65, 16, v35
	v_dual_fmac_f32 v4, v11, v57 :: v_dual_and_b32 v39, 0xffff0000, v39
	v_fmac_f32_e32 v1, v11, v69
	v_lshlrev_b32_e32 v51, 16, v21
	v_lshlrev_b32_e32 v58, 16, v28
	v_and_b32_e32 v35, 0xffff0000, v35
	v_lshlrev_b32_e32 v71, 16, v41
	v_dual_fmac_f32 v1, v12, v39 :: v_dual_lshlrev_b32 v70, 16, v40
	v_fmac_f32_e32 v2, v11, v65
	v_fmac_f32_e32 v4, v12, v27
	v_lshlrev_b32_e32 v47, 16, v15
	s_delay_alu instid0(VALU_DEP_4) | instskip(NEXT) | instid1(VALU_DEP_4)
	v_dual_fmac_f32 v1, v13, v70 :: v_dual_lshlrev_b32 v66, 16, v36
	v_fmac_f32_e32 v2, v12, v35
	s_delay_alu instid0(VALU_DEP_4) | instskip(NEXT) | instid1(VALU_DEP_4)
	v_dual_fmac_f32 v4, v13, v58 :: v_dual_and_b32 v15, 0xffff0000, v15
	v_dual_fmac_f32 v7, v11, v47 :: v_dual_lshlrev_b32 v50, 16, v18
	s_delay_alu instid0(VALU_DEP_3) | instskip(SKIP_1) | instid1(VALU_DEP_3)
	v_dual_fmac_f32 v2, v13, v66 :: v_dual_lshlrev_b32 v47, 16, v20
	v_and_b32_e32 v18, 0xffff0000, v18
	v_dual_fmac_f32 v7, v12, v15 :: v_dual_and_b32 v36, 0xffff0000, v36
	v_lshlrev_b32_e32 v52, 16, v22
	v_lshlrev_b32_e32 v53, 16, v23
	s_delay_alu instid0(VALU_DEP_3) | instskip(NEXT) | instid1(VALU_DEP_4)
	v_dual_fmac_f32 v2, v14, v36 :: v_dual_and_b32 v41, 0xffff0000, v41
	v_fmac_f32_e32 v7, v13, v48
	s_delay_alu instid0(VALU_DEP_3) | instskip(SKIP_2) | instid1(VALU_DEP_4)
	v_dual_fmac_f32 v5, v11, v53 :: v_dual_and_b32 v20, 0xffff0000, v20
	v_lshlrev_b32_e32 v15, 16, v19
	v_lshlrev_b32_e32 v49, 16, v17
	v_dual_fmac_f32 v7, v14, v16 :: v_dual_lshlrev_b32 v56, 16, v26
	s_waitcnt vmcnt(0)
	v_fmac_f32_e32 v2, v43, v67
	v_fmac_f32_e32 v6, v11, v15
	s_delay_alu instid0(VALU_DEP_3) | instskip(NEXT) | instid1(VALU_DEP_3)
	v_dual_fmac_f32 v7, v43, v49 :: v_dual_and_b32 v28, 0xffff0000, v28
	v_dual_fmac_f32 v2, v44, v37 :: v_dual_and_b32 v19, 0xffff0000, v19
	s_delay_alu instid0(VALU_DEP_2) | instskip(NEXT) | instid1(VALU_DEP_2)
	v_dual_fmac_f32 v4, v14, v28 :: v_dual_and_b32 v17, 0xffff0000, v17
	v_dual_fmac_f32 v6, v12, v19 :: v_dual_and_b32 v21, 0xffff0000, v21
	s_delay_alu instid0(VALU_DEP_2) | instskip(NEXT) | instid1(VALU_DEP_3)
	v_fmac_f32_e32 v4, v43, v59
	v_dual_fmac_f32 v7, v44, v17 :: v_dual_lshlrev_b32 v60, 16, v30
	s_delay_alu instid0(VALU_DEP_3) | instskip(NEXT) | instid1(VALU_DEP_1)
	v_fmac_f32_e32 v6, v13, v47
	v_dual_fmac_f32 v7, v45, v50 :: v_dual_fmac_f32 v6, v14, v20
	v_lshlrev_b32_e32 v55, 16, v25
	v_and_b32_e32 v25, 0xffff0000, v25
	s_delay_alu instid0(VALU_DEP_3) | instskip(NEXT) | instid1(VALU_DEP_4)
	v_dual_fmac_f32 v7, v46, v18 :: v_dual_and_b32 v40, 0xffff0000, v40
	v_fmac_f32_e32 v6, v43, v51
	v_and_b32_e32 v23, 0xffff0000, v23
	s_delay_alu instid0(VALU_DEP_2) | instskip(NEXT) | instid1(VALU_DEP_2)
	v_dual_fmac_f32 v1, v14, v40 :: v_dual_fmac_f32 v6, v44, v21
	v_dual_fmac_f32 v5, v12, v23 :: v_dual_and_b32 v24, 0xffff0000, v24
	s_delay_alu instid0(VALU_DEP_2) | instskip(NEXT) | instid1(VALU_DEP_3)
	v_dual_fmac_f32 v1, v43, v71 :: v_dual_lshlrev_b32 v62, 16, v32
	v_fmac_f32_e32 v6, v45, v52
	s_delay_alu instid0(VALU_DEP_3) | instskip(SKIP_2) | instid1(VALU_DEP_3)
	v_dual_fmac_f32 v4, v44, v29 :: v_dual_fmac_f32 v5, v13, v54
	v_and_b32_e32 v30, 0xffff0000, v30
	v_lshlrev_b32_e32 v61, 16, v31
	v_dual_fmac_f32 v1, v44, v41 :: v_dual_fmac_f32 v4, v45, v60
	s_delay_alu instid0(VALU_DEP_4) | instskip(NEXT) | instid1(VALU_DEP_3)
	v_dual_fmac_f32 v5, v14, v24 :: v_dual_and_b32 v22, 0xffff0000, v22
	v_fmac_f32_e32 v3, v11, v61
	v_lshlrev_b32_e32 v63, 16, v33
	s_delay_alu instid0(VALU_DEP_4) | instskip(NEXT) | instid1(VALU_DEP_4)
	v_dual_fmac_f32 v4, v46, v30 :: v_dual_and_b32 v33, 0xffff0000, v33
	v_fmac_f32_e32 v5, v43, v55
	v_dual_fmac_f32 v2, v45, v68 :: v_dual_and_b32 v31, 0xffff0000, v31
	v_and_b32_e32 v26, 0xffff0000, v26
	v_fmac_f32_e32 v6, v46, v22
	s_delay_alu instid0(VALU_DEP_4) | instskip(NEXT) | instid1(VALU_DEP_4)
	v_dual_fmac_f32 v5, v44, v25 :: v_dual_lshlrev_b32 v72, 16, v42
	v_dual_fmac_f32 v3, v12, v31 :: v_dual_and_b32 v32, 0xffff0000, v32
	s_delay_alu instid0(VALU_DEP_2) | instskip(NEXT) | instid1(VALU_DEP_3)
	v_fmac_f32_e32 v1, v45, v72
	v_fmac_f32_e32 v5, v45, v56
	s_delay_alu instid0(VALU_DEP_3) | instskip(SKIP_2) | instid1(VALU_DEP_4)
	v_fmac_f32_e32 v3, v13, v62
	v_lshlrev_b32_e32 v64, 16, v34
	v_and_b32_e32 v34, 0xffff0000, v34
	v_fmac_f32_e32 v5, v46, v26
	s_delay_alu instid0(VALU_DEP_4) | instskip(NEXT) | instid1(VALU_DEP_1)
	v_fmac_f32_e32 v3, v14, v32
	v_dual_fmac_f32 v3, v43, v63 :: v_dual_and_b32 v42, 0xffff0000, v42
	s_delay_alu instid0(VALU_DEP_1) | instskip(NEXT) | instid1(VALU_DEP_2)
	v_dual_fmac_f32 v2, v46, v38 :: v_dual_fmac_f32 v3, v44, v33
	v_fmac_f32_e32 v1, v46, v42
	s_delay_alu instid0(VALU_DEP_2) | instskip(NEXT) | instid1(VALU_DEP_1)
	v_fmac_f32_e32 v3, v45, v64
	v_fmac_f32_e32 v3, v46, v34
	s_cbranch_scc0 .LBB38_1
; %bb.2:
	v_mbcnt_lo_u32_b32 v11, -1, 0
	v_lshrrev_b32_e32 v15, 5, v0
	s_delay_alu instid0(VALU_DEP_2) | instskip(SKIP_1) | instid1(VALU_DEP_2)
	v_xor_b32_e32 v8, 16, v11
	v_xor_b32_e32 v9, 8, v11
	v_cmp_gt_i32_e32 vcc_lo, 32, v8
	v_cndmask_b32_e32 v8, v11, v8, vcc_lo
	s_delay_alu instid0(VALU_DEP_3) | instskip(SKIP_1) | instid1(VALU_DEP_1)
	v_cmp_gt_i32_e32 vcc_lo, 32, v9
	v_cndmask_b32_e32 v9, v11, v9, vcc_lo
	v_lshlrev_b32_e32 v9, 2, v9
	s_delay_alu instid0(VALU_DEP_4) | instskip(SKIP_4) | instid1(VALU_DEP_1)
	v_lshlrev_b32_e32 v8, 2, v8
	ds_bpermute_b32 v10, v8, v7
	s_waitcnt lgkmcnt(0)
	v_add_f32_e32 v10, v7, v10
	v_xor_b32_e32 v7, 4, v11
	v_cmp_gt_i32_e32 vcc_lo, 32, v7
	v_cndmask_b32_e32 v7, v11, v7, vcc_lo
	s_delay_alu instid0(VALU_DEP_1)
	v_lshlrev_b32_e32 v7, 2, v7
	ds_bpermute_b32 v12, v9, v10
	s_waitcnt lgkmcnt(0)
	v_add_f32_e32 v12, v10, v12
	v_xor_b32_e32 v10, 2, v11
	ds_bpermute_b32 v13, v7, v12
	v_cmp_gt_i32_e32 vcc_lo, 32, v10
	s_waitcnt lgkmcnt(0)
	v_dual_cndmask_b32 v10, v11, v10 :: v_dual_add_f32 v13, v12, v13
	v_xor_b32_e32 v12, 1, v11
	s_delay_alu instid0(VALU_DEP_1) | instskip(NEXT) | instid1(VALU_DEP_3)
	v_cmp_gt_i32_e32 vcc_lo, 32, v12
	v_dual_cndmask_b32 v11, v11, v12 :: v_dual_lshlrev_b32 v10, 2, v10
	ds_bpermute_b32 v14, v10, v13
	v_lshlrev_b32_e32 v12, 2, v11
	v_and_b32_e32 v11, 31, v0
	s_delay_alu instid0(VALU_DEP_1)
	v_cmp_eq_u32_e32 vcc_lo, 0, v11
	v_lshlrev_b32_e32 v11, 2, v15
	s_waitcnt lgkmcnt(0)
	v_add_f32_e32 v13, v13, v14
	ds_bpermute_b32 v14, v12, v13
	s_and_saveexec_b32 s2, vcc_lo
	s_cbranch_execz .LBB38_4
; %bb.3:
	s_waitcnt lgkmcnt(0)
	v_add_f32_e32 v13, v13, v14
	ds_store_b32 v11, v13
.LBB38_4:
	s_or_b32 exec_lo, exec_lo, s2
	ds_bpermute_b32 v13, v8, v6
	s_waitcnt lgkmcnt(0)
	v_add_f32_e32 v6, v6, v13
	ds_bpermute_b32 v13, v9, v6
	s_waitcnt lgkmcnt(0)
	v_add_f32_e32 v6, v6, v13
	ds_bpermute_b32 v13, v7, v6
	s_waitcnt lgkmcnt(0)
	v_add_f32_e32 v6, v6, v13
	ds_bpermute_b32 v13, v10, v6
	s_waitcnt lgkmcnt(0)
	v_add_f32_e32 v6, v6, v13
	ds_bpermute_b32 v13, v12, v6
	s_and_saveexec_b32 s2, vcc_lo
	s_cbranch_execz .LBB38_6
; %bb.5:
	s_waitcnt lgkmcnt(0)
	v_add_f32_e32 v6, v6, v13
	ds_store_b32 v11, v6 offset:16
.LBB38_6:
	s_or_b32 exec_lo, exec_lo, s2
	ds_bpermute_b32 v6, v8, v5
	s_waitcnt lgkmcnt(0)
	v_add_f32_e32 v5, v5, v6
	ds_bpermute_b32 v6, v9, v5
	s_waitcnt lgkmcnt(0)
	v_add_f32_e32 v5, v5, v6
	ds_bpermute_b32 v6, v7, v5
	s_waitcnt lgkmcnt(0)
	v_add_f32_e32 v5, v5, v6
	ds_bpermute_b32 v6, v10, v5
	s_waitcnt lgkmcnt(0)
	v_add_f32_e32 v5, v5, v6
	ds_bpermute_b32 v6, v12, v5
	s_and_saveexec_b32 s2, vcc_lo
	s_cbranch_execz .LBB38_8
; %bb.7:
	s_waitcnt lgkmcnt(0)
	v_add_f32_e32 v5, v5, v6
	ds_store_b32 v11, v5 offset:32
.LBB38_8:
	s_or_b32 exec_lo, exec_lo, s2
	ds_bpermute_b32 v5, v8, v4
	s_waitcnt lgkmcnt(0)
	v_add_f32_e32 v4, v4, v5
	ds_bpermute_b32 v5, v9, v4
	s_waitcnt lgkmcnt(0)
	v_add_f32_e32 v4, v4, v5
	ds_bpermute_b32 v5, v7, v4
	s_waitcnt lgkmcnt(0)
	v_add_f32_e32 v4, v4, v5
	ds_bpermute_b32 v5, v10, v4
	s_waitcnt lgkmcnt(0)
	v_add_f32_e32 v4, v4, v5
	ds_bpermute_b32 v5, v12, v4
	s_and_saveexec_b32 s2, vcc_lo
	s_cbranch_execz .LBB38_10
; %bb.9:
	s_waitcnt lgkmcnt(0)
	v_add_f32_e32 v4, v4, v5
	ds_store_b32 v11, v4 offset:48
.LBB38_10:
	s_or_b32 exec_lo, exec_lo, s2
	ds_bpermute_b32 v4, v8, v3
	s_waitcnt lgkmcnt(0)
	v_add_f32_e32 v3, v3, v4
	ds_bpermute_b32 v4, v9, v3
	s_waitcnt lgkmcnt(0)
	v_add_f32_e32 v3, v3, v4
	ds_bpermute_b32 v4, v7, v3
	s_waitcnt lgkmcnt(0)
	v_add_f32_e32 v3, v3, v4
	ds_bpermute_b32 v4, v10, v3
	s_waitcnt lgkmcnt(0)
	v_add_f32_e32 v3, v3, v4
	ds_bpermute_b32 v4, v12, v3
	s_and_saveexec_b32 s2, vcc_lo
	s_cbranch_execz .LBB38_12
; %bb.11:
	s_waitcnt lgkmcnt(0)
	v_add_f32_e32 v3, v3, v4
	ds_store_b32 v11, v3 offset:64
.LBB38_12:
	s_or_b32 exec_lo, exec_lo, s2
	ds_bpermute_b32 v3, v8, v2
	s_waitcnt lgkmcnt(0)
	v_add_f32_e32 v2, v2, v3
	ds_bpermute_b32 v3, v9, v2
	s_waitcnt lgkmcnt(0)
	v_add_f32_e32 v2, v2, v3
	ds_bpermute_b32 v3, v7, v2
	s_waitcnt lgkmcnt(0)
	v_add_f32_e32 v2, v2, v3
	ds_bpermute_b32 v3, v10, v2
	s_waitcnt lgkmcnt(0)
	v_add_f32_e32 v2, v2, v3
	ds_bpermute_b32 v3, v12, v2
	s_and_saveexec_b32 s2, vcc_lo
	s_cbranch_execz .LBB38_14
; %bb.13:
	s_waitcnt lgkmcnt(0)
	v_add_f32_e32 v2, v2, v3
	ds_store_b32 v11, v2 offset:80
.LBB38_14:
	s_or_b32 exec_lo, exec_lo, s2
	ds_bpermute_b32 v2, v8, v1
	s_waitcnt lgkmcnt(0)
	v_add_f32_e32 v1, v1, v2
	ds_bpermute_b32 v2, v9, v1
	s_waitcnt lgkmcnt(0)
	v_add_f32_e32 v1, v1, v2
	ds_bpermute_b32 v2, v7, v1
	s_waitcnt lgkmcnt(0)
	v_add_f32_e32 v1, v1, v2
	ds_bpermute_b32 v2, v10, v1
	s_waitcnt lgkmcnt(0)
	v_add_f32_e32 v1, v1, v2
	ds_bpermute_b32 v2, v12, v1
	s_and_saveexec_b32 s2, vcc_lo
	s_cbranch_execz .LBB38_16
; %bb.15:
	s_waitcnt lgkmcnt(0)
	v_add_f32_e32 v1, v1, v2
	ds_store_b32 v11, v1 offset:96
.LBB38_16:
	s_or_b32 exec_lo, exec_lo, s2
	s_waitcnt lgkmcnt(0)
	s_barrier
	buffer_gl0_inv
	s_mov_b32 s2, exec_lo
	v_cmpx_eq_u32_e32 0, v0
	s_cbranch_execz .LBB38_18
; %bb.17:
	v_dual_mov_b32 v28, 0 :: v_dual_mov_b32 v29, 0x1000
	s_ashr_i32 s5, s4, 31
	ds_load_b128 v[0:3], v28
	ds_load_b128 v[4:7], v28 offset:16
	ds_load_b128 v[8:11], v28 offset:32
	;; [unrolled: 1-line block ×6, first 2 shown]
	s_lshl_b64 s[2:3], s[4:5], 2
	s_delay_alu instid0(SALU_CYCLE_1)
	s_add_u32 s0, s0, s2
	s_addc_u32 s1, s1, s3
	s_waitcnt lgkmcnt(3)
	v_add_f32_e32 v12, 0, v12
	v_add_f32_e32 v4, 0, v4
	;; [unrolled: 1-line block ×3, first 2 shown]
	s_waitcnt lgkmcnt(2)
	v_add_f32_e32 v16, 0, v16
	s_delay_alu instid0(VALU_DEP_2) | instskip(SKIP_1) | instid1(VALU_DEP_2)
	v_add_f32_e32 v0, v0, v1
	v_add_f32_e32 v1, v4, v5
	v_add_f32_e32 v0, v0, v2
	s_waitcnt lgkmcnt(1)
	s_delay_alu instid0(VALU_DEP_2) | instskip(SKIP_1) | instid1(VALU_DEP_3)
	v_dual_add_f32 v1, v1, v6 :: v_dual_add_f32 v20, 0, v20
	v_add_f32_e32 v5, v12, v13
	v_add_f32_e32 v0, v0, v3
	s_delay_alu instid0(VALU_DEP_3) | instskip(NEXT) | instid1(VALU_DEP_1)
	v_dual_add_f32 v1, v1, v7 :: v_dual_add_f32 v8, 0, v8
	v_add_f32_e32 v4, v8, v9
	v_add_f32_e32 v9, v20, v21
	v_add_f32_e32 v8, v16, v17
	s_delay_alu instid0(VALU_DEP_3) | instskip(SKIP_2) | instid1(VALU_DEP_3)
	v_add_f32_e32 v2, v4, v10
	v_add_f32_e32 v4, v5, v14
	s_waitcnt lgkmcnt(0)
	v_dual_add_f32 v24, 0, v24 :: v_dual_add_f32 v5, v8, v18
	v_add_f32_e32 v6, v9, v22
	v_add_f32_e32 v2, v2, v11
	;; [unrolled: 1-line block ×3, first 2 shown]
	s_delay_alu instid0(VALU_DEP_4) | instskip(SKIP_1) | instid1(VALU_DEP_2)
	v_add_f32_e32 v12, v24, v25
	v_add_f32_e32 v4, v5, v19
	v_dual_add_f32 v5, v6, v23 :: v_dual_add_f32 v8, v12, v26
	s_delay_alu instid0(VALU_DEP_1)
	v_add_f32_e32 v6, v8, v27
	s_clause 0x6
	global_store_b32 v28, v0, s[0:1]
	global_store_b32 v28, v1, s[0:1] offset:1024
	global_store_b32 v28, v2, s[0:1] offset:2048
	;; [unrolled: 1-line block ×3, first 2 shown]
	global_store_b32 v29, v4, s[0:1]
	global_store_b32 v29, v5, s[0:1] offset:1024
	global_store_b32 v29, v6, s[0:1] offset:2048
.LBB38_18:
	s_nop 0
	s_sendmsg sendmsg(MSG_DEALLOC_VGPRS)
	s_endpgm
	.section	.rodata,"a",@progbits
	.p2align	6, 0x0
	.amdhsa_kernel _Z23fp32_router_gemm_kernelI14__hip_bfloat16Li128ELi7ELi256ELi3072EEvPfPKT_PKf
		.amdhsa_group_segment_fixed_size 112
		.amdhsa_private_segment_fixed_size 0
		.amdhsa_kernarg_size 24
		.amdhsa_user_sgpr_count 15
		.amdhsa_user_sgpr_dispatch_ptr 0
		.amdhsa_user_sgpr_queue_ptr 0
		.amdhsa_user_sgpr_kernarg_segment_ptr 1
		.amdhsa_user_sgpr_dispatch_id 0
		.amdhsa_user_sgpr_private_segment_size 0
		.amdhsa_wavefront_size32 1
		.amdhsa_uses_dynamic_stack 0
		.amdhsa_enable_private_segment 0
		.amdhsa_system_sgpr_workgroup_id_x 1
		.amdhsa_system_sgpr_workgroup_id_y 0
		.amdhsa_system_sgpr_workgroup_id_z 0
		.amdhsa_system_sgpr_workgroup_info 0
		.amdhsa_system_vgpr_workitem_id 0
		.amdhsa_next_free_vgpr 73
		.amdhsa_next_free_sgpr 16
		.amdhsa_reserve_vcc 1
		.amdhsa_float_round_mode_32 0
		.amdhsa_float_round_mode_16_64 0
		.amdhsa_float_denorm_mode_32 3
		.amdhsa_float_denorm_mode_16_64 3
		.amdhsa_dx10_clamp 1
		.amdhsa_ieee_mode 1
		.amdhsa_fp16_overflow 0
		.amdhsa_workgroup_processor_mode 1
		.amdhsa_memory_ordered 1
		.amdhsa_forward_progress 0
		.amdhsa_shared_vgpr_count 0
		.amdhsa_exception_fp_ieee_invalid_op 0
		.amdhsa_exception_fp_denorm_src 0
		.amdhsa_exception_fp_ieee_div_zero 0
		.amdhsa_exception_fp_ieee_overflow 0
		.amdhsa_exception_fp_ieee_underflow 0
		.amdhsa_exception_fp_ieee_inexact 0
		.amdhsa_exception_int_div_zero 0
	.end_amdhsa_kernel
	.section	.text._Z23fp32_router_gemm_kernelI14__hip_bfloat16Li128ELi7ELi256ELi3072EEvPfPKT_PKf,"axG",@progbits,_Z23fp32_router_gemm_kernelI14__hip_bfloat16Li128ELi7ELi256ELi3072EEvPfPKT_PKf,comdat
.Lfunc_end38:
	.size	_Z23fp32_router_gemm_kernelI14__hip_bfloat16Li128ELi7ELi256ELi3072EEvPfPKT_PKf, .Lfunc_end38-_Z23fp32_router_gemm_kernelI14__hip_bfloat16Li128ELi7ELi256ELi3072EEvPfPKT_PKf
                                        ; -- End function
	.section	.AMDGPU.csdata,"",@progbits
; Kernel info:
; codeLenInByte = 2180
; NumSgprs: 18
; NumVgprs: 73
; ScratchSize: 0
; MemoryBound: 0
; FloatMode: 240
; IeeeMode: 1
; LDSByteSize: 112 bytes/workgroup (compile time only)
; SGPRBlocks: 2
; VGPRBlocks: 9
; NumSGPRsForWavesPerEU: 18
; NumVGPRsForWavesPerEU: 73
; Occupancy: 16
; WaveLimiterHint : 1
; COMPUTE_PGM_RSRC2:SCRATCH_EN: 0
; COMPUTE_PGM_RSRC2:USER_SGPR: 15
; COMPUTE_PGM_RSRC2:TRAP_HANDLER: 0
; COMPUTE_PGM_RSRC2:TGID_X_EN: 1
; COMPUTE_PGM_RSRC2:TGID_Y_EN: 0
; COMPUTE_PGM_RSRC2:TGID_Z_EN: 0
; COMPUTE_PGM_RSRC2:TIDIG_COMP_CNT: 0
	.section	.text._Z23fp32_router_gemm_kernelI14__hip_bfloat16Li128ELi8ELi256ELi3072EEvPfPKT_PKf,"axG",@progbits,_Z23fp32_router_gemm_kernelI14__hip_bfloat16Li128ELi8ELi256ELi3072EEvPfPKT_PKf,comdat
	.protected	_Z23fp32_router_gemm_kernelI14__hip_bfloat16Li128ELi8ELi256ELi3072EEvPfPKT_PKf ; -- Begin function _Z23fp32_router_gemm_kernelI14__hip_bfloat16Li128ELi8ELi256ELi3072EEvPfPKT_PKf
	.globl	_Z23fp32_router_gemm_kernelI14__hip_bfloat16Li128ELi8ELi256ELi3072EEvPfPKT_PKf
	.p2align	8
	.type	_Z23fp32_router_gemm_kernelI14__hip_bfloat16Li128ELi8ELi256ELi3072EEvPfPKT_PKf,@function
_Z23fp32_router_gemm_kernelI14__hip_bfloat16Li128ELi8ELi256ELi3072EEvPfPKT_PKf: ; @_Z23fp32_router_gemm_kernelI14__hip_bfloat16Li128ELi8ELi256ELi3072EEvPfPKT_PKf
; %bb.0:
	s_clause 0x1
	s_load_b64 s[6:7], s[0:1], 0x10
	s_load_b128 s[0:3], s[0:1], 0x0
	v_dual_mov_b32 v2, 0 :: v_dual_lshlrev_b32 v9, 3, v0
	s_mul_i32 s8, s15, 0xc00
	v_dual_mov_b32 v8, 0 :: v_dual_mov_b32 v7, 0
	s_ashr_i32 s9, s8, 31
	v_dual_mov_b32 v6, 0 :: v_dual_mov_b32 v5, 0
	v_dual_mov_b32 v4, 0 :: v_dual_mov_b32 v3, 0
	v_mov_b32_e32 v1, 0
	s_lshl_b64 s[8:9], s[8:9], 2
	v_or_b32_e32 v10, 0x400, v9
	v_or_b32_e32 v11, 0x800, v9
	s_mov_b32 s4, s15
	s_waitcnt lgkmcnt(0)
	s_add_u32 s6, s6, s8
	s_addc_u32 s7, s7, s9
	s_mov_b64 s[8:9], 0
.LBB39_1:                               ; =>This Inner Loop Header: Depth=1
	s_delay_alu instid0(SALU_CYCLE_1)
	s_cmp_eq_u32 s8, 1
	s_cselect_b32 vcc_lo, -1, 0
	s_cmp_eq_u32 s8, 2
	v_cndmask_b32_e32 v12, v9, v10, vcc_lo
	s_cselect_b32 vcc_lo, -1, 0
	s_add_u32 s8, s8, 1
	s_addc_u32 s9, s9, 0
	s_cmp_eq_u32 s8, 3
	v_cndmask_b32_e32 v12, v12, v11, vcc_lo
	s_delay_alu instid0(VALU_DEP_1) | instskip(NEXT) | instid1(VALU_DEP_1)
	v_lshlrev_b32_e32 v16, 1, v12
	v_add_co_u32 v22, s5, s2, v16
	global_load_b128 v[16:19], v16, s[2:3]
	v_add_co_ci_u32_e64 v23, null, s3, 0, s5
	v_add_co_u32 v20, vcc_lo, 0x1000, v22
	s_delay_alu instid0(VALU_DEP_2)
	v_add_co_ci_u32_e32 v21, vcc_lo, 0, v23, vcc_lo
	v_add_co_u32 v24, vcc_lo, 0x3000, v22
	v_add_co_ci_u32_e32 v25, vcc_lo, 0, v23, vcc_lo
	v_add_co_u32 v28, vcc_lo, 0x4000, v22
	;; [unrolled: 2-line block ×6, first 2 shown]
	v_add_co_ci_u32_e32 v45, vcc_lo, 0, v23, vcc_lo
	s_waitcnt vmcnt(0)
	v_lshlrev_b32_e32 v53, 16, v17
	v_and_b32_e32 v17, 0xffff0000, v17
	v_lshlrev_b32_e32 v48, 2, v12
	global_load_b128 v[12:15], v48, s[6:7]
	s_clause 0x6
	global_load_b128 v[20:23], v[20:21], off offset:2048
	global_load_b128 v[24:27], v[24:25], off
	global_load_b128 v[28:31], v[28:29], off offset:2048
	global_load_b128 v[32:35], v[32:33], off
	;; [unrolled: 2-line block ×3, first 2 shown]
	global_load_b128 v[44:47], v[44:45], off offset:2048
	global_load_b128 v[48:51], v48, s[6:7] offset:16
	s_waitcnt vmcnt(2)
	v_lshlrev_b32_e32 v76, 16, v42
	s_waitcnt vmcnt(1)
	v_lshlrev_b32_e32 v81, 16, v47
	v_and_b32_e32 v47, 0xffff0000, v47
	v_lshlrev_b32_e32 v78, 16, v44
	v_lshlrev_b32_e32 v52, 16, v16
	;; [unrolled: 1-line block ×3, first 2 shown]
	v_and_b32_e32 v44, 0xffff0000, v44
	v_lshlrev_b32_e32 v79, 16, v45
	v_and_b32_e32 v45, 0xffff0000, v45
	v_lshlrev_b32_e32 v62, 16, v28
	v_lshlrev_b32_e32 v80, 16, v46
	v_and_b32_e32 v46, 0xffff0000, v46
	v_dual_fmac_f32 v1, v12, v78 :: v_dual_lshlrev_b32 v70, 16, v36
	v_dual_fmac_f32 v2, v12, v74 :: v_dual_lshlrev_b32 v59, 16, v25
	v_and_b32_e32 v36, 0xffff0000, v36
	v_dual_fmac_f32 v5, v12, v62 :: v_dual_and_b32 v40, 0xffff0000, v40
	s_delay_alu instid0(VALU_DEP_4)
	v_fmac_f32_e32 v3, v12, v70
	v_lshlrev_b32_e32 v56, 16, v22
	v_dual_fmac_f32 v1, v13, v44 :: v_dual_and_b32 v22, 0xffff0000, v22
	v_and_b32_e32 v28, 0xffff0000, v28
	v_dual_fmac_f32 v8, v12, v52 :: v_dual_lshlrev_b32 v55, 16, v19
	v_lshlrev_b32_e32 v52, 16, v21
	v_dual_fmac_f32 v2, v13, v40 :: v_dual_lshlrev_b32 v63, 16, v29
	v_lshlrev_b32_e32 v75, 16, v41
	v_fmac_f32_e32 v5, v13, v28
	v_and_b32_e32 v16, 0xffff0000, v16
	v_lshlrev_b32_e32 v71, 16, v37
	s_delay_alu instid0(VALU_DEP_4) | instskip(NEXT) | instid1(VALU_DEP_4)
	v_dual_fmac_f32 v3, v13, v36 :: v_dual_fmac_f32 v2, v14, v75
	v_fmac_f32_e32 v5, v14, v63
	s_delay_alu instid0(VALU_DEP_4) | instskip(NEXT) | instid1(VALU_DEP_3)
	v_dual_fmac_f32 v8, v13, v16 :: v_dual_and_b32 v19, 0xffff0000, v19
	v_dual_fmac_f32 v3, v14, v71 :: v_dual_lshlrev_b32 v16, 16, v20
	v_lshlrev_b32_e32 v54, 16, v18
	v_dual_fmac_f32 v1, v14, v79 :: v_dual_and_b32 v20, 0xffff0000, v20
	s_delay_alu instid0(VALU_DEP_3) | instskip(SKIP_2) | instid1(VALU_DEP_3)
	v_dual_fmac_f32 v7, v12, v16 :: v_dual_and_b32 v18, 0xffff0000, v18
	v_dual_fmac_f32 v8, v14, v53 :: v_dual_lshlrev_b32 v57, 16, v23
	v_lshlrev_b32_e32 v61, 16, v27
	v_dual_fmac_f32 v7, v13, v20 :: v_dual_lshlrev_b32 v60, 16, v26
	s_delay_alu instid0(VALU_DEP_3) | instskip(SKIP_1) | instid1(VALU_DEP_3)
	v_fmac_f32_e32 v8, v15, v17
	v_and_b32_e32 v29, 0xffff0000, v29
	v_fmac_f32_e32 v7, v14, v52
	v_lshlrev_b32_e32 v58, 16, v24
	s_waitcnt vmcnt(0)
	v_dual_fmac_f32 v8, v48, v54 :: v_dual_and_b32 v21, 0xffff0000, v21
	v_dual_fmac_f32 v5, v15, v29 :: v_dual_and_b32 v24, 0xffff0000, v24
	s_delay_alu instid0(VALU_DEP_3) | instskip(NEXT) | instid1(VALU_DEP_3)
	v_dual_fmac_f32 v6, v12, v58 :: v_dual_and_b32 v25, 0xffff0000, v25
	v_dual_fmac_f32 v7, v15, v21 :: v_dual_lshlrev_b32 v64, 16, v30
	s_delay_alu instid0(VALU_DEP_4) | instskip(NEXT) | instid1(VALU_DEP_3)
	v_dual_fmac_f32 v8, v49, v18 :: v_dual_lshlrev_b32 v65, 16, v31
	v_dual_fmac_f32 v6, v13, v24 :: v_dual_lshlrev_b32 v67, 16, v33
	v_and_b32_e32 v37, 0xffff0000, v37
	s_delay_alu instid0(VALU_DEP_3) | instskip(SKIP_1) | instid1(VALU_DEP_4)
	v_dual_fmac_f32 v7, v48, v56 :: v_dual_fmac_f32 v8, v50, v55
	v_dual_fmac_f32 v5, v48, v64 :: v_dual_and_b32 v30, 0xffff0000, v30
	v_fmac_f32_e32 v6, v14, v59
	s_delay_alu instid0(VALU_DEP_4) | instskip(SKIP_1) | instid1(VALU_DEP_4)
	v_dual_fmac_f32 v3, v15, v37 :: v_dual_and_b32 v26, 0xffff0000, v26
	v_and_b32_e32 v31, 0xffff0000, v31
	v_dual_fmac_f32 v5, v49, v30 :: v_dual_lshlrev_b32 v66, 16, v32
	v_lshlrev_b32_e32 v72, 16, v38
	v_dual_fmac_f32 v6, v15, v25 :: v_dual_and_b32 v23, 0xffff0000, v23
	s_delay_alu instid0(VALU_DEP_3) | instskip(NEXT) | instid1(VALU_DEP_2)
	v_dual_fmac_f32 v4, v12, v66 :: v_dual_lshlrev_b32 v73, 16, v39
	v_dual_fmac_f32 v5, v50, v65 :: v_dual_fmac_f32 v6, v48, v60
	s_delay_alu instid0(VALU_DEP_4) | instskip(SKIP_2) | instid1(VALU_DEP_4)
	v_dual_fmac_f32 v3, v48, v72 :: v_dual_lshlrev_b32 v68, 16, v34
	v_and_b32_e32 v38, 0xffff0000, v38
	v_and_b32_e32 v32, 0xffff0000, v32
	v_dual_fmac_f32 v6, v49, v26 :: v_dual_lshlrev_b32 v77, 16, v43
	v_dual_fmac_f32 v8, v51, v19 :: v_dual_and_b32 v41, 0xffff0000, v41
	s_delay_alu instid0(VALU_DEP_4) | instskip(NEXT) | instid1(VALU_DEP_4)
	v_fmac_f32_e32 v3, v49, v38
	v_dual_fmac_f32 v4, v13, v32 :: v_dual_and_b32 v27, 0xffff0000, v27
	v_and_b32_e32 v33, 0xffff0000, v33
	v_fmac_f32_e32 v6, v50, v61
	v_fmac_f32_e32 v2, v15, v41
	;; [unrolled: 1-line block ×4, first 2 shown]
	v_lshlrev_b32_e32 v69, 16, v35
	v_and_b32_e32 v35, 0xffff0000, v35
	v_fmac_f32_e32 v6, v51, v27
	v_fmac_f32_e32 v1, v15, v45
	;; [unrolled: 1-line block ×3, first 2 shown]
	v_and_b32_e32 v34, 0xffff0000, v34
	v_and_b32_e32 v39, 0xffff0000, v39
	v_dual_fmac_f32 v5, v51, v31 :: v_dual_fmac_f32 v2, v48, v76
	s_delay_alu instid0(VALU_DEP_4) | instskip(NEXT) | instid1(VALU_DEP_3)
	v_fmac_f32_e32 v4, v48, v68
	v_dual_fmac_f32 v3, v51, v39 :: v_dual_and_b32 v42, 0xffff0000, v42
	v_fmac_f32_e32 v1, v48, v80
	s_delay_alu instid0(VALU_DEP_3) | instskip(SKIP_1) | instid1(VALU_DEP_4)
	v_dual_fmac_f32 v4, v49, v34 :: v_dual_and_b32 v43, 0xffff0000, v43
	v_fmac_f32_e32 v7, v49, v22
	v_fmac_f32_e32 v2, v49, v42
	s_delay_alu instid0(VALU_DEP_3) | instskip(NEXT) | instid1(VALU_DEP_3)
	v_dual_fmac_f32 v1, v49, v46 :: v_dual_fmac_f32 v4, v50, v69
	v_fmac_f32_e32 v7, v50, v57
	s_delay_alu instid0(VALU_DEP_3) | instskip(NEXT) | instid1(VALU_DEP_3)
	v_fmac_f32_e32 v2, v50, v77
	v_dual_fmac_f32 v1, v50, v81 :: v_dual_fmac_f32 v4, v51, v35
	s_delay_alu instid0(VALU_DEP_3) | instskip(NEXT) | instid1(VALU_DEP_3)
	v_fmac_f32_e32 v7, v51, v23
	v_fmac_f32_e32 v2, v51, v43
	s_delay_alu instid0(VALU_DEP_3)
	v_fmac_f32_e32 v1, v51, v47
	s_cbranch_scc0 .LBB39_1
; %bb.2:
	v_mbcnt_lo_u32_b32 v12, -1, 0
	v_lshrrev_b32_e32 v16, 5, v0
	s_delay_alu instid0(VALU_DEP_2) | instskip(SKIP_1) | instid1(VALU_DEP_2)
	v_xor_b32_e32 v9, 16, v12
	v_xor_b32_e32 v10, 8, v12
	v_cmp_gt_i32_e32 vcc_lo, 32, v9
	v_cndmask_b32_e32 v9, v12, v9, vcc_lo
	s_delay_alu instid0(VALU_DEP_3) | instskip(SKIP_1) | instid1(VALU_DEP_1)
	v_cmp_gt_i32_e32 vcc_lo, 32, v10
	v_cndmask_b32_e32 v10, v12, v10, vcc_lo
	v_lshlrev_b32_e32 v10, 2, v10
	s_delay_alu instid0(VALU_DEP_4) | instskip(SKIP_4) | instid1(VALU_DEP_1)
	v_lshlrev_b32_e32 v9, 2, v9
	ds_bpermute_b32 v11, v9, v8
	s_waitcnt lgkmcnt(0)
	v_add_f32_e32 v11, v8, v11
	v_xor_b32_e32 v8, 4, v12
	v_cmp_gt_i32_e32 vcc_lo, 32, v8
	v_cndmask_b32_e32 v8, v12, v8, vcc_lo
	s_delay_alu instid0(VALU_DEP_1)
	v_lshlrev_b32_e32 v8, 2, v8
	ds_bpermute_b32 v13, v10, v11
	s_waitcnt lgkmcnt(0)
	v_add_f32_e32 v13, v11, v13
	v_xor_b32_e32 v11, 2, v12
	ds_bpermute_b32 v14, v8, v13
	v_cmp_gt_i32_e32 vcc_lo, 32, v11
	s_waitcnt lgkmcnt(0)
	v_dual_cndmask_b32 v11, v12, v11 :: v_dual_add_f32 v14, v13, v14
	v_xor_b32_e32 v13, 1, v12
	s_delay_alu instid0(VALU_DEP_1) | instskip(NEXT) | instid1(VALU_DEP_3)
	v_cmp_gt_i32_e32 vcc_lo, 32, v13
	v_dual_cndmask_b32 v12, v12, v13 :: v_dual_lshlrev_b32 v11, 2, v11
	ds_bpermute_b32 v15, v11, v14
	v_lshlrev_b32_e32 v13, 2, v12
	v_and_b32_e32 v12, 31, v0
	s_delay_alu instid0(VALU_DEP_1)
	v_cmp_eq_u32_e32 vcc_lo, 0, v12
	v_lshlrev_b32_e32 v12, 2, v16
	s_waitcnt lgkmcnt(0)
	v_add_f32_e32 v14, v14, v15
	ds_bpermute_b32 v15, v13, v14
	s_and_saveexec_b32 s2, vcc_lo
	s_cbranch_execz .LBB39_4
; %bb.3:
	s_waitcnt lgkmcnt(0)
	v_add_f32_e32 v14, v14, v15
	ds_store_b32 v12, v14
.LBB39_4:
	s_or_b32 exec_lo, exec_lo, s2
	ds_bpermute_b32 v14, v9, v7
	s_waitcnt lgkmcnt(0)
	v_add_f32_e32 v7, v7, v14
	ds_bpermute_b32 v14, v10, v7
	s_waitcnt lgkmcnt(0)
	v_add_f32_e32 v7, v7, v14
	ds_bpermute_b32 v14, v8, v7
	s_waitcnt lgkmcnt(0)
	v_add_f32_e32 v7, v7, v14
	ds_bpermute_b32 v14, v11, v7
	s_waitcnt lgkmcnt(0)
	v_add_f32_e32 v7, v7, v14
	ds_bpermute_b32 v14, v13, v7
	s_and_saveexec_b32 s2, vcc_lo
	s_cbranch_execz .LBB39_6
; %bb.5:
	s_waitcnt lgkmcnt(0)
	v_add_f32_e32 v7, v7, v14
	ds_store_b32 v12, v7 offset:16
.LBB39_6:
	s_or_b32 exec_lo, exec_lo, s2
	ds_bpermute_b32 v7, v9, v6
	s_waitcnt lgkmcnt(0)
	v_add_f32_e32 v6, v6, v7
	ds_bpermute_b32 v7, v10, v6
	s_waitcnt lgkmcnt(0)
	v_add_f32_e32 v6, v6, v7
	ds_bpermute_b32 v7, v8, v6
	s_waitcnt lgkmcnt(0)
	v_add_f32_e32 v6, v6, v7
	ds_bpermute_b32 v7, v11, v6
	s_waitcnt lgkmcnt(0)
	v_add_f32_e32 v6, v6, v7
	ds_bpermute_b32 v7, v13, v6
	s_and_saveexec_b32 s2, vcc_lo
	s_cbranch_execz .LBB39_8
; %bb.7:
	s_waitcnt lgkmcnt(0)
	v_add_f32_e32 v6, v6, v7
	ds_store_b32 v12, v6 offset:32
.LBB39_8:
	;; [unrolled: 21-line block ×7, first 2 shown]
	s_or_b32 exec_lo, exec_lo, s2
	s_waitcnt lgkmcnt(0)
	s_barrier
	buffer_gl0_inv
	s_mov_b32 s2, exec_lo
	v_cmpx_eq_u32_e32 0, v0
	s_cbranch_execz .LBB39_20
; %bb.19:
	v_mov_b32_e32 v32, 0
	s_ashr_i32 s5, s4, 31
	ds_load_b128 v[0:3], v32
	ds_load_b128 v[4:7], v32 offset:16
	ds_load_b128 v[8:11], v32 offset:32
	;; [unrolled: 1-line block ×7, first 2 shown]
	s_lshl_b64 s[2:3], s[4:5], 2
	s_delay_alu instid0(SALU_CYCLE_1)
	s_add_u32 s0, s0, s2
	s_addc_u32 s1, s1, s3
	s_waitcnt lgkmcnt(4)
	v_add_f32_e32 v12, 0, v12
	v_add_f32_e32 v0, 0, v0
	s_waitcnt lgkmcnt(2)
	v_add_f32_e32 v20, 0, v20
	v_add_f32_e32 v4, 0, v4
	;; [unrolled: 3-line block ×3, first 2 shown]
	v_add_f32_e32 v0, v0, v1
	v_dual_add_f32 v16, 0, v16 :: v_dual_add_f32 v1, v4, v5
	s_delay_alu instid0(VALU_DEP_2) | instskip(NEXT) | instid1(VALU_DEP_2)
	v_add_f32_e32 v0, v0, v2
	v_dual_add_f32 v1, v1, v6 :: v_dual_add_f32 v24, 0, v24
	v_add_f32_e32 v5, v12, v13
	v_add_f32_e32 v13, v28, v29
	s_delay_alu instid0(VALU_DEP_3) | instskip(SKIP_3) | instid1(VALU_DEP_4)
	v_dual_add_f32 v4, v8, v9 :: v_dual_add_f32 v1, v1, v7
	v_add_f32_e32 v8, v16, v17
	v_add_f32_e32 v12, v24, v25
	;; [unrolled: 1-line block ×8, first 2 shown]
	v_dual_add_f32 v9, v13, v30 :: v_dual_add_f32 v0, v0, v3
	v_add_f32_e32 v2, v2, v11
	s_delay_alu instid0(VALU_DEP_4)
	v_add_f32_e32 v7, v8, v27
	v_add_f32_e32 v3, v4, v15
	v_dual_add_f32 v4, v5, v19 :: v_dual_mov_b32 v5, 0x1000
	v_add_f32_e32 v6, v6, v23
	v_add_f32_e32 v8, v9, v31
	s_clause 0x7
	global_store_b32 v32, v0, s[0:1]
	global_store_b32 v32, v1, s[0:1] offset:1024
	global_store_b32 v32, v2, s[0:1] offset:2048
	;; [unrolled: 1-line block ×3, first 2 shown]
	global_store_b32 v5, v4, s[0:1]
	global_store_b32 v5, v6, s[0:1] offset:1024
	global_store_b32 v5, v7, s[0:1] offset:2048
	;; [unrolled: 1-line block ×3, first 2 shown]
.LBB39_20:
	s_nop 0
	s_sendmsg sendmsg(MSG_DEALLOC_VGPRS)
	s_endpgm
	.section	.rodata,"a",@progbits
	.p2align	6, 0x0
	.amdhsa_kernel _Z23fp32_router_gemm_kernelI14__hip_bfloat16Li128ELi8ELi256ELi3072EEvPfPKT_PKf
		.amdhsa_group_segment_fixed_size 128
		.amdhsa_private_segment_fixed_size 0
		.amdhsa_kernarg_size 24
		.amdhsa_user_sgpr_count 15
		.amdhsa_user_sgpr_dispatch_ptr 0
		.amdhsa_user_sgpr_queue_ptr 0
		.amdhsa_user_sgpr_kernarg_segment_ptr 1
		.amdhsa_user_sgpr_dispatch_id 0
		.amdhsa_user_sgpr_private_segment_size 0
		.amdhsa_wavefront_size32 1
		.amdhsa_uses_dynamic_stack 0
		.amdhsa_enable_private_segment 0
		.amdhsa_system_sgpr_workgroup_id_x 1
		.amdhsa_system_sgpr_workgroup_id_y 0
		.amdhsa_system_sgpr_workgroup_id_z 0
		.amdhsa_system_sgpr_workgroup_info 0
		.amdhsa_system_vgpr_workitem_id 0
		.amdhsa_next_free_vgpr 82
		.amdhsa_next_free_sgpr 16
		.amdhsa_reserve_vcc 1
		.amdhsa_float_round_mode_32 0
		.amdhsa_float_round_mode_16_64 0
		.amdhsa_float_denorm_mode_32 3
		.amdhsa_float_denorm_mode_16_64 3
		.amdhsa_dx10_clamp 1
		.amdhsa_ieee_mode 1
		.amdhsa_fp16_overflow 0
		.amdhsa_workgroup_processor_mode 1
		.amdhsa_memory_ordered 1
		.amdhsa_forward_progress 0
		.amdhsa_shared_vgpr_count 0
		.amdhsa_exception_fp_ieee_invalid_op 0
		.amdhsa_exception_fp_denorm_src 0
		.amdhsa_exception_fp_ieee_div_zero 0
		.amdhsa_exception_fp_ieee_overflow 0
		.amdhsa_exception_fp_ieee_underflow 0
		.amdhsa_exception_fp_ieee_inexact 0
		.amdhsa_exception_int_div_zero 0
	.end_amdhsa_kernel
	.section	.text._Z23fp32_router_gemm_kernelI14__hip_bfloat16Li128ELi8ELi256ELi3072EEvPfPKT_PKf,"axG",@progbits,_Z23fp32_router_gemm_kernelI14__hip_bfloat16Li128ELi8ELi256ELi3072EEvPfPKT_PKf,comdat
.Lfunc_end39:
	.size	_Z23fp32_router_gemm_kernelI14__hip_bfloat16Li128ELi8ELi256ELi3072EEvPfPKT_PKf, .Lfunc_end39-_Z23fp32_router_gemm_kernelI14__hip_bfloat16Li128ELi8ELi256ELi3072EEvPfPKT_PKf
                                        ; -- End function
	.section	.AMDGPU.csdata,"",@progbits
; Kernel info:
; codeLenInByte = 2392
; NumSgprs: 18
; NumVgprs: 82
; ScratchSize: 0
; MemoryBound: 0
; FloatMode: 240
; IeeeMode: 1
; LDSByteSize: 128 bytes/workgroup (compile time only)
; SGPRBlocks: 2
; VGPRBlocks: 10
; NumSGPRsForWavesPerEU: 18
; NumVGPRsForWavesPerEU: 82
; Occupancy: 16
; WaveLimiterHint : 1
; COMPUTE_PGM_RSRC2:SCRATCH_EN: 0
; COMPUTE_PGM_RSRC2:USER_SGPR: 15
; COMPUTE_PGM_RSRC2:TRAP_HANDLER: 0
; COMPUTE_PGM_RSRC2:TGID_X_EN: 1
; COMPUTE_PGM_RSRC2:TGID_Y_EN: 0
; COMPUTE_PGM_RSRC2:TGID_Z_EN: 0
; COMPUTE_PGM_RSRC2:TIDIG_COMP_CNT: 0
	.section	.text._Z23fp32_router_gemm_kernelI14__hip_bfloat16Li128ELi9ELi256ELi3072EEvPfPKT_PKf,"axG",@progbits,_Z23fp32_router_gemm_kernelI14__hip_bfloat16Li128ELi9ELi256ELi3072EEvPfPKT_PKf,comdat
	.protected	_Z23fp32_router_gemm_kernelI14__hip_bfloat16Li128ELi9ELi256ELi3072EEvPfPKT_PKf ; -- Begin function _Z23fp32_router_gemm_kernelI14__hip_bfloat16Li128ELi9ELi256ELi3072EEvPfPKT_PKf
	.globl	_Z23fp32_router_gemm_kernelI14__hip_bfloat16Li128ELi9ELi256ELi3072EEvPfPKT_PKf
	.p2align	8
	.type	_Z23fp32_router_gemm_kernelI14__hip_bfloat16Li128ELi9ELi256ELi3072EEvPfPKT_PKf,@function
_Z23fp32_router_gemm_kernelI14__hip_bfloat16Li128ELi9ELi256ELi3072EEvPfPKT_PKf: ; @_Z23fp32_router_gemm_kernelI14__hip_bfloat16Li128ELi9ELi256ELi3072EEvPfPKT_PKf
; %bb.0:
	s_clause 0x1
	s_load_b64 s[6:7], s[0:1], 0x10
	s_load_b128 s[0:3], s[0:1], 0x0
	v_dual_mov_b32 v3, 0 :: v_dual_lshlrev_b32 v10, 3, v0
	s_mul_i32 s8, s15, 0xc00
	v_dual_mov_b32 v9, 0 :: v_dual_mov_b32 v8, 0
	s_ashr_i32 s9, s8, 31
	v_dual_mov_b32 v7, 0 :: v_dual_mov_b32 v6, 0
	v_dual_mov_b32 v5, 0 :: v_dual_mov_b32 v4, 0
	;; [unrolled: 1-line block ×3, first 2 shown]
	s_lshl_b64 s[8:9], s[8:9], 2
	v_or_b32_e32 v11, 0x400, v10
	v_or_b32_e32 v12, 0x800, v10
	s_mov_b32 s4, s15
	s_waitcnt lgkmcnt(0)
	s_add_u32 s6, s6, s8
	s_addc_u32 s7, s7, s9
	s_mov_b64 s[8:9], 0
.LBB40_1:                               ; =>This Inner Loop Header: Depth=1
	s_delay_alu instid0(SALU_CYCLE_1)
	s_cmp_eq_u32 s8, 1
	s_cselect_b32 vcc_lo, -1, 0
	s_cmp_eq_u32 s8, 2
	v_cndmask_b32_e32 v13, v10, v11, vcc_lo
	s_cselect_b32 vcc_lo, -1, 0
	s_add_u32 s8, s8, 1
	s_addc_u32 s9, s9, 0
	s_cmp_eq_u32 s8, 3
	v_cndmask_b32_e32 v13, v13, v12, vcc_lo
	s_delay_alu instid0(VALU_DEP_1) | instskip(NEXT) | instid1(VALU_DEP_1)
	v_lshlrev_b32_e32 v17, 1, v13
	v_add_co_u32 v23, s5, s2, v17
	global_load_b128 v[17:20], v17, s[2:3]
	v_add_co_ci_u32_e64 v24, null, s3, 0, s5
	v_add_co_u32 v21, vcc_lo, 0x1000, v23
	s_delay_alu instid0(VALU_DEP_2)
	v_add_co_ci_u32_e32 v22, vcc_lo, 0, v24, vcc_lo
	v_add_co_u32 v25, vcc_lo, 0x3000, v23
	v_add_co_ci_u32_e32 v26, vcc_lo, 0, v24, vcc_lo
	v_add_co_u32 v29, vcc_lo, 0x4000, v23
	;; [unrolled: 2-line block ×7, first 2 shown]
	v_add_co_ci_u32_e32 v50, vcc_lo, 0, v24, vcc_lo
	s_waitcnt vmcnt(0)
	v_lshlrev_b32_e32 v56, 16, v18
	v_lshlrev_b32_e32 v53, 2, v13
	v_lshlrev_b32_e32 v54, 16, v17
	global_load_b128 v[13:16], v53, s[6:7]
	s_clause 0x7
	global_load_b128 v[21:24], v[21:22], off offset:2048
	global_load_b128 v[25:28], v[25:26], off
	global_load_b128 v[29:32], v[29:30], off offset:2048
	global_load_b128 v[33:36], v[33:34], off
	;; [unrolled: 2-line block ×4, first 2 shown]
	v_lshlrev_b32_e32 v58, 16, v19
	s_waitcnt vmcnt(3)
	v_lshlrev_b32_e32 v80, 16, v39
	v_and_b32_e32 v39, 0xffff0000, v39
	s_waitcnt vmcnt(1)
	v_lshlrev_b32_e32 v86, 16, v45
	v_and_b32_e32 v59, 0xffff0000, v19
	v_dual_fmac_f32 v9, v13, v54 :: v_dual_lshlrev_b32 v88, 16, v47
	s_delay_alu instid0(VALU_DEP_3)
	v_dual_fmac_f32 v2, v13, v86 :: v_dual_lshlrev_b32 v89, 16, v48
	v_lshlrev_b32_e32 v78, 16, v37
	v_and_b32_e32 v55, 0xffff0000, v17
	v_and_b32_e32 v37, 0xffff0000, v37
	s_waitcnt vmcnt(0)
	v_lshlrev_b32_e32 v90, 16, v49
	v_lshlrev_b32_e32 v68, 16, v27
	v_fmac_f32_e32 v4, v13, v78
	v_dual_fmac_f32 v9, v14, v55 :: v_dual_lshlrev_b32 v60, 16, v20
	v_lshlrev_b32_e32 v62, 16, v21
	s_delay_alu instid0(VALU_DEP_3) | instskip(SKIP_1) | instid1(VALU_DEP_3)
	v_dual_fmac_f32 v4, v14, v37 :: v_dual_lshlrev_b32 v63, 16, v22
	v_and_b32_e32 v21, 0xffff0000, v21
	v_dual_fmac_f32 v9, v15, v56 :: v_dual_fmac_f32 v8, v13, v62
	v_and_b32_e32 v57, 0xffff0000, v18
	v_lshlrev_b32_e32 v91, 16, v50
	v_and_b32_e32 v50, 0xffff0000, v50
	v_lshlrev_b32_e32 v82, 16, v41
	v_fmac_f32_e32 v8, v14, v21
	v_dual_fmac_f32 v9, v16, v57 :: v_dual_and_b32 v22, 0xffff0000, v22
	s_delay_alu instid0(VALU_DEP_3) | instskip(NEXT) | instid1(VALU_DEP_3)
	v_dual_fmac_f32 v3, v13, v82 :: v_dual_lshlrev_b32 v66, 16, v25
	v_fmac_f32_e32 v8, v15, v63
	v_and_b32_e32 v27, 0xffff0000, v27
	v_lshlrev_b32_e32 v70, 16, v29
	s_delay_alu instid0(VALU_DEP_4) | instskip(NEXT) | instid1(VALU_DEP_4)
	v_dual_fmac_f32 v7, v13, v66 :: v_dual_lshlrev_b32 v64, 16, v23
	v_fmac_f32_e32 v8, v16, v22
	v_and_b32_e32 v48, 0xffff0000, v48
	v_and_b32_e32 v47, 0xffff0000, v47
	v_lshlrev_b32_e32 v79, 16, v38
	v_and_b32_e32 v25, 0xffff0000, v25
	v_and_b32_e32 v38, 0xffff0000, v38
	v_dual_fmac_f32 v6, v13, v70 :: v_dual_and_b32 v49, 0xffff0000, v49
	s_delay_alu instid0(VALU_DEP_4) | instskip(SKIP_1) | instid1(VALU_DEP_2)
	v_dual_fmac_f32 v4, v15, v79 :: v_dual_and_b32 v29, 0xffff0000, v29
	v_dual_fmac_f32 v1, v13, v90 :: v_dual_lshlrev_b32 v72, 16, v31
	v_dual_fmac_f32 v7, v14, v25 :: v_dual_fmac_f32 v4, v16, v38
	s_delay_alu instid0(VALU_DEP_3)
	v_dual_fmac_f32 v6, v14, v29 :: v_dual_and_b32 v61, 0xffff0000, v20
	global_load_b128 v[17:20], v53, s[6:7] offset:16
	v_lshlrev_b32_e32 v71, 16, v30
	v_and_b32_e32 v45, 0xffff0000, v45
	v_and_b32_e32 v23, 0xffff0000, v23
	v_lshlrev_b32_e32 v75, 16, v34
	v_lshlrev_b32_e32 v87, 16, v46
	;; [unrolled: 1-line block ×3, first 2 shown]
	v_dual_fmac_f32 v2, v14, v45 :: v_dual_lshlrev_b32 v67, 16, v26
	v_and_b32_e32 v26, 0xffff0000, v26
	v_dual_fmac_f32 v1, v14, v49 :: v_dual_and_b32 v46, 0xffff0000, v46
	s_delay_alu instid0(VALU_DEP_3) | instskip(SKIP_3) | instid1(VALU_DEP_4)
	v_fmac_f32_e32 v2, v15, v87
	v_and_b32_e32 v31, 0xffff0000, v31
	v_and_b32_e32 v51, 0xffff0000, v51
	v_lshlrev_b32_e32 v85, 16, v44
	v_dual_fmac_f32 v2, v16, v46 :: v_dual_lshlrev_b32 v93, 16, v52
	v_fmac_f32_e32 v7, v15, v67
	v_lshlrev_b32_e32 v76, 16, v35
	v_fmac_f32_e32 v1, v15, v91
	s_waitcnt vmcnt(0)
	s_delay_alu instid0(VALU_DEP_3) | instskip(SKIP_3) | instid1(VALU_DEP_4)
	v_dual_fmac_f32 v7, v16, v26 :: v_dual_fmac_f32 v8, v17, v64
	v_dual_fmac_f32 v6, v15, v71 :: v_dual_lshlrev_b32 v65, 16, v24
	v_lshlrev_b32_e32 v73, 16, v32
	v_fmac_f32_e32 v4, v17, v80
	v_fmac_f32_e32 v8, v18, v23
	v_lshlrev_b32_e32 v74, 16, v33
	v_and_b32_e32 v24, 0xffff0000, v24
	v_dual_fmac_f32 v9, v17, v58 :: v_dual_and_b32 v32, 0xffff0000, v32
	s_delay_alu instid0(VALU_DEP_3) | instskip(SKIP_1) | instid1(VALU_DEP_2)
	v_dual_fmac_f32 v8, v19, v65 :: v_dual_fmac_f32 v5, v13, v74
	v_dual_fmac_f32 v4, v18, v39 :: v_dual_and_b32 v41, 0xffff0000, v41
	v_dual_fmac_f32 v9, v18, v59 :: v_dual_fmac_f32 v8, v20, v24
	s_delay_alu instid0(VALU_DEP_2) | instskip(SKIP_1) | instid1(VALU_DEP_3)
	v_dual_fmac_f32 v3, v14, v41 :: v_dual_and_b32 v30, 0xffff0000, v30
	v_lshlrev_b32_e32 v69, 16, v28
	v_fmac_f32_e32 v9, v19, v60
	v_and_b32_e32 v44, 0xffff0000, v44
	s_delay_alu instid0(VALU_DEP_4) | instskip(SKIP_1) | instid1(VALU_DEP_2)
	v_dual_fmac_f32 v6, v16, v30 :: v_dual_and_b32 v33, 0xffff0000, v33
	v_fmac_f32_e32 v7, v17, v68
	v_dual_fmac_f32 v9, v20, v61 :: v_dual_fmac_f32 v6, v17, v72
	v_lshlrev_b32_e32 v77, 16, v36
	s_delay_alu instid0(VALU_DEP_4) | instskip(NEXT) | instid1(VALU_DEP_4)
	v_dual_fmac_f32 v5, v14, v33 :: v_dual_and_b32 v28, 0xffff0000, v28
	v_fmac_f32_e32 v7, v18, v27
	s_delay_alu instid0(VALU_DEP_4) | instskip(NEXT) | instid1(VALU_DEP_3)
	v_dual_fmac_f32 v6, v18, v31 :: v_dual_lshlrev_b32 v81, 16, v40
	v_dual_fmac_f32 v5, v15, v75 :: v_dual_and_b32 v36, 0xffff0000, v36
	s_delay_alu instid0(VALU_DEP_3) | instskip(NEXT) | instid1(VALU_DEP_3)
	v_fmac_f32_e32 v7, v19, v69
	v_dual_fmac_f32 v6, v19, v73 :: v_dual_lshlrev_b32 v83, 16, v42
	s_delay_alu instid0(VALU_DEP_4) | instskip(SKIP_4) | instid1(VALU_DEP_3)
	v_fmac_f32_e32 v4, v19, v81
	v_and_b32_e32 v42, 0xffff0000, v42
	v_and_b32_e32 v34, 0xffff0000, v34
	v_dual_fmac_f32 v2, v17, v88 :: v_dual_and_b32 v35, 0xffff0000, v35
	v_dual_fmac_f32 v3, v15, v83 :: v_dual_and_b32 v40, 0xffff0000, v40
	v_dual_fmac_f32 v5, v16, v34 :: v_dual_lshlrev_b32 v84, 16, v43
	s_delay_alu instid0(VALU_DEP_2) | instskip(SKIP_1) | instid1(VALU_DEP_3)
	v_dual_fmac_f32 v2, v18, v47 :: v_dual_fmac_f32 v3, v16, v42
	v_and_b32_e32 v43, 0xffff0000, v43
	v_fmac_f32_e32 v5, v17, v76
	s_delay_alu instid0(VALU_DEP_3) | instskip(NEXT) | instid1(VALU_DEP_4)
	v_dual_fmac_f32 v7, v20, v28 :: v_dual_fmac_f32 v2, v19, v89
	v_fmac_f32_e32 v3, v17, v84
	s_delay_alu instid0(VALU_DEP_3) | instskip(SKIP_1) | instid1(VALU_DEP_3)
	v_dual_fmac_f32 v6, v20, v32 :: v_dual_fmac_f32 v5, v18, v35
	v_fmac_f32_e32 v4, v20, v40
	v_dual_fmac_f32 v2, v20, v48 :: v_dual_fmac_f32 v3, v18, v43
	v_fmac_f32_e32 v1, v16, v50
	s_delay_alu instid0(VALU_DEP_4) | instskip(NEXT) | instid1(VALU_DEP_3)
	v_fmac_f32_e32 v5, v19, v77
	v_fmac_f32_e32 v3, v19, v85
	s_delay_alu instid0(VALU_DEP_3) | instskip(SKIP_1) | instid1(VALU_DEP_4)
	v_fmac_f32_e32 v1, v17, v92
	v_and_b32_e32 v52, 0xffff0000, v52
	v_fmac_f32_e32 v5, v20, v36
	s_delay_alu instid0(VALU_DEP_4) | instskip(NEXT) | instid1(VALU_DEP_4)
	v_fmac_f32_e32 v3, v20, v44
	v_fmac_f32_e32 v1, v18, v51
	s_delay_alu instid0(VALU_DEP_1) | instskip(NEXT) | instid1(VALU_DEP_1)
	v_fmac_f32_e32 v1, v19, v93
	v_fmac_f32_e32 v1, v20, v52
	s_cbranch_scc0 .LBB40_1
; %bb.2:
	v_mbcnt_lo_u32_b32 v13, -1, 0
	v_lshrrev_b32_e32 v17, 5, v0
	s_delay_alu instid0(VALU_DEP_2) | instskip(SKIP_1) | instid1(VALU_DEP_2)
	v_xor_b32_e32 v10, 16, v13
	v_xor_b32_e32 v11, 8, v13
	v_cmp_gt_i32_e32 vcc_lo, 32, v10
	v_cndmask_b32_e32 v10, v13, v10, vcc_lo
	s_delay_alu instid0(VALU_DEP_3) | instskip(SKIP_1) | instid1(VALU_DEP_1)
	v_cmp_gt_i32_e32 vcc_lo, 32, v11
	v_cndmask_b32_e32 v11, v13, v11, vcc_lo
	v_lshlrev_b32_e32 v11, 2, v11
	s_delay_alu instid0(VALU_DEP_4) | instskip(SKIP_4) | instid1(VALU_DEP_1)
	v_lshlrev_b32_e32 v10, 2, v10
	ds_bpermute_b32 v12, v10, v9
	s_waitcnt lgkmcnt(0)
	v_add_f32_e32 v12, v9, v12
	v_xor_b32_e32 v9, 4, v13
	v_cmp_gt_i32_e32 vcc_lo, 32, v9
	v_cndmask_b32_e32 v9, v13, v9, vcc_lo
	s_delay_alu instid0(VALU_DEP_1)
	v_lshlrev_b32_e32 v9, 2, v9
	ds_bpermute_b32 v14, v11, v12
	s_waitcnt lgkmcnt(0)
	v_add_f32_e32 v14, v12, v14
	v_xor_b32_e32 v12, 2, v13
	ds_bpermute_b32 v15, v9, v14
	v_cmp_gt_i32_e32 vcc_lo, 32, v12
	s_waitcnt lgkmcnt(0)
	v_dual_cndmask_b32 v12, v13, v12 :: v_dual_add_f32 v15, v14, v15
	v_xor_b32_e32 v14, 1, v13
	s_delay_alu instid0(VALU_DEP_1) | instskip(NEXT) | instid1(VALU_DEP_3)
	v_cmp_gt_i32_e32 vcc_lo, 32, v14
	v_dual_cndmask_b32 v13, v13, v14 :: v_dual_lshlrev_b32 v12, 2, v12
	ds_bpermute_b32 v16, v12, v15
	v_lshlrev_b32_e32 v14, 2, v13
	v_and_b32_e32 v13, 31, v0
	s_delay_alu instid0(VALU_DEP_1)
	v_cmp_eq_u32_e32 vcc_lo, 0, v13
	v_lshlrev_b32_e32 v13, 2, v17
	s_waitcnt lgkmcnt(0)
	v_add_f32_e32 v15, v15, v16
	ds_bpermute_b32 v16, v14, v15
	s_and_saveexec_b32 s2, vcc_lo
	s_cbranch_execz .LBB40_4
; %bb.3:
	s_waitcnt lgkmcnt(0)
	v_add_f32_e32 v15, v15, v16
	ds_store_b32 v13, v15
.LBB40_4:
	s_or_b32 exec_lo, exec_lo, s2
	ds_bpermute_b32 v15, v10, v8
	s_waitcnt lgkmcnt(0)
	v_add_f32_e32 v8, v8, v15
	ds_bpermute_b32 v15, v11, v8
	s_waitcnt lgkmcnt(0)
	v_add_f32_e32 v8, v8, v15
	ds_bpermute_b32 v15, v9, v8
	s_waitcnt lgkmcnt(0)
	v_add_f32_e32 v8, v8, v15
	ds_bpermute_b32 v15, v12, v8
	s_waitcnt lgkmcnt(0)
	v_add_f32_e32 v8, v8, v15
	ds_bpermute_b32 v15, v14, v8
	s_and_saveexec_b32 s2, vcc_lo
	s_cbranch_execz .LBB40_6
; %bb.5:
	s_waitcnt lgkmcnt(0)
	v_add_f32_e32 v8, v8, v15
	ds_store_b32 v13, v8 offset:16
.LBB40_6:
	s_or_b32 exec_lo, exec_lo, s2
	ds_bpermute_b32 v8, v10, v7
	s_waitcnt lgkmcnt(0)
	v_add_f32_e32 v7, v7, v8
	ds_bpermute_b32 v8, v11, v7
	s_waitcnt lgkmcnt(0)
	v_add_f32_e32 v7, v7, v8
	ds_bpermute_b32 v8, v9, v7
	s_waitcnt lgkmcnt(0)
	v_add_f32_e32 v7, v7, v8
	ds_bpermute_b32 v8, v12, v7
	s_waitcnt lgkmcnt(0)
	v_add_f32_e32 v7, v7, v8
	ds_bpermute_b32 v8, v14, v7
	s_and_saveexec_b32 s2, vcc_lo
	s_cbranch_execz .LBB40_8
; %bb.7:
	s_waitcnt lgkmcnt(0)
	v_add_f32_e32 v7, v7, v8
	ds_store_b32 v13, v7 offset:32
.LBB40_8:
	s_or_b32 exec_lo, exec_lo, s2
	ds_bpermute_b32 v7, v10, v6
	s_waitcnt lgkmcnt(0)
	v_add_f32_e32 v6, v6, v7
	ds_bpermute_b32 v7, v11, v6
	s_waitcnt lgkmcnt(0)
	v_add_f32_e32 v6, v6, v7
	ds_bpermute_b32 v7, v9, v6
	s_waitcnt lgkmcnt(0)
	v_add_f32_e32 v6, v6, v7
	ds_bpermute_b32 v7, v12, v6
	s_waitcnt lgkmcnt(0)
	v_add_f32_e32 v6, v6, v7
	ds_bpermute_b32 v7, v14, v6
	s_and_saveexec_b32 s2, vcc_lo
	s_cbranch_execz .LBB40_10
; %bb.9:
	s_waitcnt lgkmcnt(0)
	v_add_f32_e32 v6, v6, v7
	ds_store_b32 v13, v6 offset:48
.LBB40_10:
	s_or_b32 exec_lo, exec_lo, s2
	ds_bpermute_b32 v6, v10, v5
	s_waitcnt lgkmcnt(0)
	v_add_f32_e32 v5, v5, v6
	ds_bpermute_b32 v6, v11, v5
	s_waitcnt lgkmcnt(0)
	v_add_f32_e32 v5, v5, v6
	ds_bpermute_b32 v6, v9, v5
	s_waitcnt lgkmcnt(0)
	v_add_f32_e32 v5, v5, v6
	ds_bpermute_b32 v6, v12, v5
	s_waitcnt lgkmcnt(0)
	v_add_f32_e32 v5, v5, v6
	ds_bpermute_b32 v6, v14, v5
	s_and_saveexec_b32 s2, vcc_lo
	s_cbranch_execz .LBB40_12
; %bb.11:
	s_waitcnt lgkmcnt(0)
	v_add_f32_e32 v5, v5, v6
	ds_store_b32 v13, v5 offset:64
.LBB40_12:
	s_or_b32 exec_lo, exec_lo, s2
	ds_bpermute_b32 v5, v10, v4
	s_waitcnt lgkmcnt(0)
	v_add_f32_e32 v4, v4, v5
	ds_bpermute_b32 v5, v11, v4
	s_waitcnt lgkmcnt(0)
	v_add_f32_e32 v4, v4, v5
	ds_bpermute_b32 v5, v9, v4
	s_waitcnt lgkmcnt(0)
	v_add_f32_e32 v4, v4, v5
	ds_bpermute_b32 v5, v12, v4
	s_waitcnt lgkmcnt(0)
	v_add_f32_e32 v4, v4, v5
	ds_bpermute_b32 v5, v14, v4
	s_and_saveexec_b32 s2, vcc_lo
	s_cbranch_execz .LBB40_14
; %bb.13:
	s_waitcnt lgkmcnt(0)
	v_add_f32_e32 v4, v4, v5
	ds_store_b32 v13, v4 offset:80
.LBB40_14:
	s_or_b32 exec_lo, exec_lo, s2
	ds_bpermute_b32 v4, v10, v3
	s_waitcnt lgkmcnt(0)
	v_add_f32_e32 v3, v3, v4
	ds_bpermute_b32 v4, v11, v3
	s_waitcnt lgkmcnt(0)
	v_add_f32_e32 v3, v3, v4
	ds_bpermute_b32 v4, v9, v3
	s_waitcnt lgkmcnt(0)
	v_add_f32_e32 v3, v3, v4
	ds_bpermute_b32 v4, v12, v3
	s_waitcnt lgkmcnt(0)
	v_add_f32_e32 v3, v3, v4
	ds_bpermute_b32 v4, v14, v3
	s_and_saveexec_b32 s2, vcc_lo
	s_cbranch_execz .LBB40_16
; %bb.15:
	s_waitcnt lgkmcnt(0)
	v_add_f32_e32 v3, v3, v4
	ds_store_b32 v13, v3 offset:96
.LBB40_16:
	s_or_b32 exec_lo, exec_lo, s2
	ds_bpermute_b32 v3, v10, v2
	s_waitcnt lgkmcnt(0)
	v_add_f32_e32 v2, v2, v3
	ds_bpermute_b32 v3, v11, v2
	s_waitcnt lgkmcnt(0)
	v_add_f32_e32 v2, v2, v3
	ds_bpermute_b32 v3, v9, v2
	s_waitcnt lgkmcnt(0)
	v_add_f32_e32 v2, v2, v3
	ds_bpermute_b32 v3, v12, v2
	s_waitcnt lgkmcnt(0)
	v_add_f32_e32 v2, v2, v3
	ds_bpermute_b32 v3, v14, v2
	s_and_saveexec_b32 s2, vcc_lo
	s_cbranch_execz .LBB40_18
; %bb.17:
	s_waitcnt lgkmcnt(0)
	v_add_f32_e32 v2, v2, v3
	ds_store_b32 v13, v2 offset:112
.LBB40_18:
	s_or_b32 exec_lo, exec_lo, s2
	ds_bpermute_b32 v2, v10, v1
	s_waitcnt lgkmcnt(0)
	v_add_f32_e32 v1, v1, v2
	ds_bpermute_b32 v2, v11, v1
	s_waitcnt lgkmcnt(0)
	v_add_f32_e32 v1, v1, v2
	ds_bpermute_b32 v2, v9, v1
	s_waitcnt lgkmcnt(0)
	v_add_f32_e32 v1, v1, v2
	ds_bpermute_b32 v2, v12, v1
	s_waitcnt lgkmcnt(0)
	v_add_f32_e32 v1, v1, v2
	ds_bpermute_b32 v2, v14, v1
	s_and_saveexec_b32 s2, vcc_lo
	s_cbranch_execz .LBB40_20
; %bb.19:
	s_waitcnt lgkmcnt(0)
	v_add_f32_e32 v1, v1, v2
	ds_store_b32 v13, v1 offset:128
.LBB40_20:
	s_or_b32 exec_lo, exec_lo, s2
	s_waitcnt lgkmcnt(0)
	s_barrier
	buffer_gl0_inv
	s_mov_b32 s2, exec_lo
	v_cmpx_eq_u32_e32 0, v0
	s_cbranch_execz .LBB40_22
; %bb.21:
	v_mov_b32_e32 v36, 0
	s_ashr_i32 s5, s4, 31
	ds_load_b128 v[0:3], v36
	ds_load_b128 v[4:7], v36 offset:16
	ds_load_b128 v[8:11], v36 offset:32
	;; [unrolled: 1-line block ×8, first 2 shown]
	s_lshl_b64 s[2:3], s[4:5], 2
	s_delay_alu instid0(SALU_CYCLE_1)
	s_add_u32 s0, s0, s2
	s_addc_u32 s1, s1, s3
	s_waitcnt lgkmcnt(5)
	v_add_f32_e32 v12, 0, v12
	v_add_f32_e32 v0, 0, v0
	s_waitcnt lgkmcnt(3)
	v_add_f32_e32 v20, 0, v20
	v_add_f32_e32 v4, 0, v4
	;; [unrolled: 3-line block ×3, first 2 shown]
	v_add_f32_e32 v0, v0, v1
	v_dual_add_f32 v16, 0, v16 :: v_dual_add_f32 v1, v4, v5
	s_delay_alu instid0(VALU_DEP_2) | instskip(NEXT) | instid1(VALU_DEP_2)
	v_add_f32_e32 v0, v0, v2
	v_add_f32_e32 v1, v1, v6
	;; [unrolled: 1-line block ×5, first 2 shown]
	s_waitcnt lgkmcnt(0)
	v_dual_add_f32 v32, 0, v32 :: v_dual_add_f32 v1, v1, v7
	v_add_f32_e32 v9, v20, v21
	v_dual_add_f32 v7, v13, v30 :: v_dual_add_f32 v8, v16, v17
	v_add_f32_e32 v2, v4, v10
	v_add_f32_e32 v4, v5, v14
	;; [unrolled: 1-line block ×11, first 2 shown]
	v_mov_b32_e32 v10, 0x2000
	v_add_f32_e32 v6, v12, v26
	v_add_f32_e32 v4, v5, v19
	v_add_f32_e32 v5, v9, v22
	v_dual_mov_b32 v9, 0x1000 :: v_dual_add_f32 v8, v8, v35
	s_delay_alu instid0(VALU_DEP_4) | instskip(NEXT) | instid1(VALU_DEP_3)
	v_add_f32_e32 v6, v6, v27
	v_add_f32_e32 v5, v5, v23
	s_clause 0x8
	global_store_b32 v36, v0, s[0:1]
	global_store_b32 v36, v1, s[0:1] offset:1024
	global_store_b32 v36, v2, s[0:1] offset:2048
	;; [unrolled: 1-line block ×3, first 2 shown]
	global_store_b32 v9, v4, s[0:1]
	global_store_b32 v9, v5, s[0:1] offset:1024
	global_store_b32 v9, v6, s[0:1] offset:2048
	;; [unrolled: 1-line block ×3, first 2 shown]
	global_store_b32 v10, v8, s[0:1]
.LBB40_22:
	s_nop 0
	s_sendmsg sendmsg(MSG_DEALLOC_VGPRS)
	s_endpgm
	.section	.rodata,"a",@progbits
	.p2align	6, 0x0
	.amdhsa_kernel _Z23fp32_router_gemm_kernelI14__hip_bfloat16Li128ELi9ELi256ELi3072EEvPfPKT_PKf
		.amdhsa_group_segment_fixed_size 144
		.amdhsa_private_segment_fixed_size 0
		.amdhsa_kernarg_size 24
		.amdhsa_user_sgpr_count 15
		.amdhsa_user_sgpr_dispatch_ptr 0
		.amdhsa_user_sgpr_queue_ptr 0
		.amdhsa_user_sgpr_kernarg_segment_ptr 1
		.amdhsa_user_sgpr_dispatch_id 0
		.amdhsa_user_sgpr_private_segment_size 0
		.amdhsa_wavefront_size32 1
		.amdhsa_uses_dynamic_stack 0
		.amdhsa_enable_private_segment 0
		.amdhsa_system_sgpr_workgroup_id_x 1
		.amdhsa_system_sgpr_workgroup_id_y 0
		.amdhsa_system_sgpr_workgroup_id_z 0
		.amdhsa_system_sgpr_workgroup_info 0
		.amdhsa_system_vgpr_workitem_id 0
		.amdhsa_next_free_vgpr 94
		.amdhsa_next_free_sgpr 16
		.amdhsa_reserve_vcc 1
		.amdhsa_float_round_mode_32 0
		.amdhsa_float_round_mode_16_64 0
		.amdhsa_float_denorm_mode_32 3
		.amdhsa_float_denorm_mode_16_64 3
		.amdhsa_dx10_clamp 1
		.amdhsa_ieee_mode 1
		.amdhsa_fp16_overflow 0
		.amdhsa_workgroup_processor_mode 1
		.amdhsa_memory_ordered 1
		.amdhsa_forward_progress 0
		.amdhsa_shared_vgpr_count 0
		.amdhsa_exception_fp_ieee_invalid_op 0
		.amdhsa_exception_fp_denorm_src 0
		.amdhsa_exception_fp_ieee_div_zero 0
		.amdhsa_exception_fp_ieee_overflow 0
		.amdhsa_exception_fp_ieee_underflow 0
		.amdhsa_exception_fp_ieee_inexact 0
		.amdhsa_exception_int_div_zero 0
	.end_amdhsa_kernel
	.section	.text._Z23fp32_router_gemm_kernelI14__hip_bfloat16Li128ELi9ELi256ELi3072EEvPfPKT_PKf,"axG",@progbits,_Z23fp32_router_gemm_kernelI14__hip_bfloat16Li128ELi9ELi256ELi3072EEvPfPKT_PKf,comdat
.Lfunc_end40:
	.size	_Z23fp32_router_gemm_kernelI14__hip_bfloat16Li128ELi9ELi256ELi3072EEvPfPKT_PKf, .Lfunc_end40-_Z23fp32_router_gemm_kernelI14__hip_bfloat16Li128ELi9ELi256ELi3072EEvPfPKT_PKf
                                        ; -- End function
	.section	.AMDGPU.csdata,"",@progbits
; Kernel info:
; codeLenInByte = 2660
; NumSgprs: 18
; NumVgprs: 94
; ScratchSize: 0
; MemoryBound: 0
; FloatMode: 240
; IeeeMode: 1
; LDSByteSize: 144 bytes/workgroup (compile time only)
; SGPRBlocks: 2
; VGPRBlocks: 11
; NumSGPRsForWavesPerEU: 18
; NumVGPRsForWavesPerEU: 94
; Occupancy: 16
; WaveLimiterHint : 1
; COMPUTE_PGM_RSRC2:SCRATCH_EN: 0
; COMPUTE_PGM_RSRC2:USER_SGPR: 15
; COMPUTE_PGM_RSRC2:TRAP_HANDLER: 0
; COMPUTE_PGM_RSRC2:TGID_X_EN: 1
; COMPUTE_PGM_RSRC2:TGID_Y_EN: 0
; COMPUTE_PGM_RSRC2:TGID_Z_EN: 0
; COMPUTE_PGM_RSRC2:TIDIG_COMP_CNT: 0
	.section	.text._Z23fp32_router_gemm_kernelI14__hip_bfloat16Li128ELi10ELi256ELi3072EEvPfPKT_PKf,"axG",@progbits,_Z23fp32_router_gemm_kernelI14__hip_bfloat16Li128ELi10ELi256ELi3072EEvPfPKT_PKf,comdat
	.protected	_Z23fp32_router_gemm_kernelI14__hip_bfloat16Li128ELi10ELi256ELi3072EEvPfPKT_PKf ; -- Begin function _Z23fp32_router_gemm_kernelI14__hip_bfloat16Li128ELi10ELi256ELi3072EEvPfPKT_PKf
	.globl	_Z23fp32_router_gemm_kernelI14__hip_bfloat16Li128ELi10ELi256ELi3072EEvPfPKT_PKf
	.p2align	8
	.type	_Z23fp32_router_gemm_kernelI14__hip_bfloat16Li128ELi10ELi256ELi3072EEvPfPKT_PKf,@function
_Z23fp32_router_gemm_kernelI14__hip_bfloat16Li128ELi10ELi256ELi3072EEvPfPKT_PKf: ; @_Z23fp32_router_gemm_kernelI14__hip_bfloat16Li128ELi10ELi256ELi3072EEvPfPKT_PKf
; %bb.0:
	s_clause 0x1
	s_load_b64 s[6:7], s[0:1], 0x10
	s_load_b128 s[0:3], s[0:1], 0x0
	v_dual_mov_b32 v2, 0 :: v_dual_lshlrev_b32 v11, 3, v0
	s_mul_i32 s8, s15, 0xc00
	v_dual_mov_b32 v10, 0 :: v_dual_mov_b32 v9, 0
	s_ashr_i32 s9, s8, 31
	v_dual_mov_b32 v8, 0 :: v_dual_mov_b32 v7, 0
	v_dual_mov_b32 v6, 0 :: v_dual_mov_b32 v5, 0
	;; [unrolled: 1-line block ×3, first 2 shown]
	v_mov_b32_e32 v1, 0
	s_lshl_b64 s[8:9], s[8:9], 2
	v_or_b32_e32 v12, 0x400, v11
	v_or_b32_e32 v13, 0x800, v11
	s_mov_b32 s4, s15
	s_waitcnt lgkmcnt(0)
	s_add_u32 s6, s6, s8
	s_addc_u32 s7, s7, s9
	s_mov_b64 s[8:9], 0
.LBB41_1:                               ; =>This Inner Loop Header: Depth=1
	s_delay_alu instid0(SALU_CYCLE_1)
	s_cmp_eq_u32 s8, 1
	s_cselect_b32 vcc_lo, -1, 0
	s_cmp_eq_u32 s8, 2
	v_cndmask_b32_e32 v14, v11, v12, vcc_lo
	s_cselect_b32 vcc_lo, -1, 0
	s_add_u32 s8, s8, 1
	s_addc_u32 s9, s9, 0
	s_cmp_eq_u32 s8, 3
	v_cndmask_b32_e32 v14, v14, v13, vcc_lo
	s_delay_alu instid0(VALU_DEP_1) | instskip(SKIP_1) | instid1(VALU_DEP_2)
	v_lshlrev_b32_e32 v18, 1, v14
	v_lshlrev_b32_e32 v58, 2, v14
	v_add_co_u32 v24, s5, s2, v18
	s_delay_alu instid0(VALU_DEP_1)
	v_add_co_ci_u32_e64 v25, null, s3, 0, s5
	global_load_b128 v[14:17], v18, s[2:3]
	v_add_co_u32 v22, vcc_lo, 0x1000, v24
	v_add_co_ci_u32_e32 v23, vcc_lo, 0, v25, vcc_lo
	v_add_co_u32 v26, vcc_lo, 0x3000, v24
	v_add_co_ci_u32_e32 v27, vcc_lo, 0, v25, vcc_lo
	v_add_co_u32 v30, vcc_lo, 0x4000, v24
	v_add_co_ci_u32_e32 v31, vcc_lo, 0, v25, vcc_lo
	v_add_co_u32 v34, vcc_lo, 0x6000, v24
	v_add_co_ci_u32_e32 v35, vcc_lo, 0, v25, vcc_lo
	v_add_co_u32 v38, vcc_lo, 0x7000, v24
	v_add_co_ci_u32_e32 v39, vcc_lo, 0, v25, vcc_lo
	v_add_co_u32 v42, vcc_lo, 0x9000, v24
	v_add_co_ci_u32_e32 v43, vcc_lo, 0, v25, vcc_lo
	v_add_co_u32 v46, vcc_lo, 0xa000, v24
	v_add_co_ci_u32_e32 v47, vcc_lo, 0, v25, vcc_lo
	v_add_co_u32 v50, vcc_lo, 0xc000, v24
	v_add_co_ci_u32_e32 v51, vcc_lo, 0, v25, vcc_lo
	v_add_co_u32 v54, vcc_lo, 0xd000, v24
	v_add_co_ci_u32_e32 v55, vcc_lo, 0, v25, vcc_lo
	global_load_b128 v[18:21], v58, s[6:7]
	s_clause 0x8
	global_load_b128 v[22:25], v[22:23], off offset:2048
	global_load_b128 v[26:29], v[26:27], off
	global_load_b128 v[30:33], v[30:31], off offset:2048
	global_load_b128 v[34:37], v[34:35], off
	;; [unrolled: 2-line block ×4, first 2 shown]
	global_load_b128 v[54:57], v[54:55], off offset:2048
	global_load_b128 v[58:61], v58, s[6:7] offset:16
	s_waitcnt vmcnt(11)
	v_lshlrev_b32_e32 v63, 16, v15
	v_and_b32_e32 v15, 0xffff0000, v15
	s_waitcnt vmcnt(6)
	v_lshlrev_b32_e32 v77, 16, v34
	s_waitcnt vmcnt(5)
	v_lshlrev_b32_e32 v81, 16, v38
	v_lshlrev_b32_e32 v62, 16, v14
	s_waitcnt vmcnt(3)
	v_lshlrev_b32_e32 v89, 16, v46
	v_and_b32_e32 v14, 0xffff0000, v14
	s_waitcnt vmcnt(2)
	v_lshlrev_b32_e32 v93, 16, v50
	v_fmac_f32_e32 v5, v18, v81
	v_dual_fmac_f32 v10, v18, v62 :: v_dual_lshlrev_b32 v65, 16, v17
	s_delay_alu instid0(VALU_DEP_3) | instskip(SKIP_1) | instid1(VALU_DEP_3)
	v_dual_fmac_f32 v2, v18, v93 :: v_dual_lshlrev_b32 v71, 16, v28
	v_dual_fmac_f32 v3, v18, v89 :: v_dual_and_b32 v50, 0xffff0000, v50
	v_dual_fmac_f32 v10, v19, v14 :: v_dual_and_b32 v17, 0xffff0000, v17
	s_waitcnt vmcnt(1)
	v_lshlrev_b32_e32 v14, 16, v56
	v_and_b32_e32 v56, 0xffff0000, v56
	v_and_b32_e32 v46, 0xffff0000, v46
	v_lshlrev_b32_e32 v70, 16, v27
	v_lshlrev_b32_e32 v90, 16, v47
	;; [unrolled: 1-line block ×3, first 2 shown]
	v_fmac_f32_e32 v2, v19, v50
	v_dual_fmac_f32 v3, v19, v46 :: v_dual_lshlrev_b32 v76, 16, v33
	v_and_b32_e32 v33, 0xffff0000, v33
	v_lshlrev_b32_e32 v82, 16, v39
	s_delay_alu instid0(VALU_DEP_4)
	v_dual_fmac_f32 v2, v20, v94 :: v_dual_and_b32 v39, 0xffff0000, v39
	v_and_b32_e32 v47, 0xffff0000, v47
	v_and_b32_e32 v51, 0xffff0000, v51
	v_fmac_f32_e32 v3, v20, v90
	v_dual_fmac_f32 v10, v20, v63 :: v_dual_lshlrev_b32 v67, 16, v24
	v_dual_fmac_f32 v6, v18, v77 :: v_dual_lshlrev_b32 v69, 16, v26
	s_delay_alu instid0(VALU_DEP_3)
	v_dual_fmac_f32 v3, v21, v47 :: v_dual_and_b32 v26, 0xffff0000, v26
	v_dual_fmac_f32 v2, v21, v51 :: v_dual_lshlrev_b32 v85, 16, v42
	v_lshlrev_b32_e32 v95, 16, v52
	v_dual_fmac_f32 v10, v21, v15 :: v_dual_lshlrev_b32 v91, 16, v48
	v_lshlrev_b32_e32 v73, 16, v30
	v_lshlrev_b32_e32 v96, 16, v53
	s_waitcnt vmcnt(0)
	v_fmac_f32_e32 v2, v58, v95
	v_dual_fmac_f32 v3, v58, v91 :: v_dual_and_b32 v38, 0xffff0000, v38
	v_lshlrev_b32_e32 v68, 16, v25
	v_and_b32_e32 v25, 0xffff0000, v25
	v_lshlrev_b32_e32 v99, 16, v57
	v_and_b32_e32 v57, 0xffff0000, v57
	;; [unrolled: 2-line block ×3, first 2 shown]
	v_dual_fmac_f32 v7, v18, v73 :: v_dual_and_b32 v30, 0xffff0000, v30
	v_and_b32_e32 v24, 0xffff0000, v24
	v_and_b32_e32 v34, 0xffff0000, v34
	v_dual_fmac_f32 v5, v19, v38 :: v_dual_lshlrev_b32 v74, 16, v31
	s_delay_alu instid0(VALU_DEP_4) | instskip(SKIP_1) | instid1(VALU_DEP_4)
	v_fmac_f32_e32 v7, v19, v30
	v_dual_fmac_f32 v4, v18, v85 :: v_dual_and_b32 v27, 0xffff0000, v27
	v_dual_fmac_f32 v6, v19, v34 :: v_dual_and_b32 v31, 0xffff0000, v31
	v_and_b32_e32 v42, 0xffff0000, v42
	v_lshlrev_b32_e32 v75, 16, v32
	v_dual_fmac_f32 v5, v20, v82 :: v_dual_and_b32 v32, 0xffff0000, v32
	v_fmac_f32_e32 v7, v20, v74
	v_lshlrev_b32_e32 v62, 16, v22
	s_delay_alu instid0(VALU_DEP_3) | instskip(NEXT) | instid1(VALU_DEP_3)
	v_dual_fmac_f32 v5, v21, v39 :: v_dual_and_b32 v22, 0xffff0000, v22
	v_dual_fmac_f32 v8, v18, v69 :: v_dual_fmac_f32 v7, v21, v31
	s_delay_alu instid0(VALU_DEP_3) | instskip(SKIP_2) | instid1(VALU_DEP_4)
	v_dual_fmac_f32 v9, v18, v62 :: v_dual_lshlrev_b32 v64, 16, v16
	v_lshlrev_b32_e32 v66, 16, v23
	v_dual_fmac_f32 v4, v19, v42 :: v_dual_and_b32 v23, 0xffff0000, v23
	v_fmac_f32_e32 v7, v58, v75
	s_delay_alu instid0(VALU_DEP_4) | instskip(SKIP_1) | instid1(VALU_DEP_3)
	v_dual_fmac_f32 v9, v19, v22 :: v_dual_lshlrev_b32 v72, 16, v29
	v_dual_fmac_f32 v8, v19, v26 :: v_dual_and_b32 v29, 0xffff0000, v29
	v_fmac_f32_e32 v7, v59, v32
	s_delay_alu instid0(VALU_DEP_3) | instskip(SKIP_4) | instid1(VALU_DEP_4)
	v_fmac_f32_e32 v9, v20, v66
	v_lshlrev_b32_e32 v97, 16, v54
	v_and_b32_e32 v16, 0xffff0000, v16
	v_and_b32_e32 v54, 0xffff0000, v54
	v_dual_fmac_f32 v7, v60, v76 :: v_dual_lshlrev_b32 v92, 16, v49
	v_dual_fmac_f32 v1, v18, v97 :: v_dual_and_b32 v28, 0xffff0000, v28
	v_fmac_f32_e32 v8, v20, v70
	s_delay_alu instid0(VALU_DEP_3) | instskip(NEXT) | instid1(VALU_DEP_3)
	v_dual_fmac_f32 v7, v61, v33 :: v_dual_and_b32 v48, 0xffff0000, v48
	v_dual_fmac_f32 v1, v19, v54 :: v_dual_lshlrev_b32 v78, 16, v35
	v_and_b32_e32 v35, 0xffff0000, v35
	s_delay_alu instid0(VALU_DEP_3) | instskip(NEXT) | instid1(VALU_DEP_3)
	v_dual_fmac_f32 v3, v59, v48 :: v_dual_lshlrev_b32 v88, 16, v45
	v_fmac_f32_e32 v1, v20, v98
	s_delay_alu instid0(VALU_DEP_4) | instskip(SKIP_3) | instid1(VALU_DEP_4)
	v_dual_fmac_f32 v6, v20, v78 :: v_dual_lshlrev_b32 v79, 16, v36
	v_and_b32_e32 v36, 0xffff0000, v36
	v_lshlrev_b32_e32 v83, 16, v40
	v_dual_fmac_f32 v10, v58, v64 :: v_dual_fmac_f32 v9, v21, v23
	v_dual_fmac_f32 v6, v21, v35 :: v_dual_and_b32 v45, 0xffff0000, v45
	s_delay_alu instid0(VALU_DEP_3) | instskip(NEXT) | instid1(VALU_DEP_3)
	v_dual_fmac_f32 v5, v58, v83 :: v_dual_lshlrev_b32 v80, 16, v37
	v_fmac_f32_e32 v10, v59, v16
	s_delay_alu instid0(VALU_DEP_3) | instskip(SKIP_2) | instid1(VALU_DEP_3)
	v_fmac_f32_e32 v6, v58, v79
	v_dual_fmac_f32 v9, v58, v67 :: v_dual_lshlrev_b32 v84, 16, v41
	v_dual_fmac_f32 v8, v21, v27 :: v_dual_lshlrev_b32 v87, 16, v44
	v_fmac_f32_e32 v6, v59, v36
	s_delay_alu instid0(VALU_DEP_3) | instskip(NEXT) | instid1(VALU_DEP_3)
	v_dual_fmac_f32 v10, v60, v65 :: v_dual_fmac_f32 v9, v59, v24
	v_dual_fmac_f32 v8, v58, v71 :: v_dual_and_b32 v49, 0xffff0000, v49
	s_delay_alu instid0(VALU_DEP_3) | instskip(NEXT) | instid1(VALU_DEP_3)
	v_dual_fmac_f32 v6, v60, v80 :: v_dual_fmac_f32 v1, v21, v55
	v_fmac_f32_e32 v9, v60, v68
	s_delay_alu instid0(VALU_DEP_3) | instskip(SKIP_3) | instid1(VALU_DEP_4)
	v_fmac_f32_e32 v8, v59, v28
	v_and_b32_e32 v44, 0xffff0000, v44
	v_fmac_f32_e32 v3, v60, v92
	v_fmac_f32_e32 v1, v58, v14
	v_dual_fmac_f32 v9, v61, v25 :: v_dual_fmac_f32 v8, v60, v72
	v_fmac_f32_e32 v10, v61, v17
	s_delay_alu instid0(VALU_DEP_4) | instskip(NEXT) | instid1(VALU_DEP_4)
	v_fmac_f32_e32 v3, v61, v49
	v_fmac_f32_e32 v1, v59, v56
	v_and_b32_e32 v40, 0xffff0000, v40
	s_delay_alu instid0(VALU_DEP_2) | instskip(NEXT) | instid1(VALU_DEP_2)
	v_dual_fmac_f32 v8, v61, v29 :: v_dual_fmac_f32 v1, v60, v99
	v_dual_fmac_f32 v5, v59, v40 :: v_dual_lshlrev_b32 v86, 16, v43
	v_and_b32_e32 v37, 0xffff0000, v37
	s_delay_alu instid0(VALU_DEP_2) | instskip(SKIP_1) | instid1(VALU_DEP_3)
	v_dual_fmac_f32 v4, v20, v86 :: v_dual_and_b32 v43, 0xffff0000, v43
	v_and_b32_e32 v41, 0xffff0000, v41
	v_dual_fmac_f32 v5, v60, v84 :: v_dual_fmac_f32 v6, v61, v37
	s_delay_alu instid0(VALU_DEP_3) | instskip(NEXT) | instid1(VALU_DEP_2)
	v_fmac_f32_e32 v4, v21, v43
	v_dual_fmac_f32 v5, v61, v41 :: v_dual_and_b32 v52, 0xffff0000, v52
	s_delay_alu instid0(VALU_DEP_2) | instskip(NEXT) | instid1(VALU_DEP_2)
	v_dual_fmac_f32 v4, v58, v87 :: v_dual_and_b32 v53, 0xffff0000, v53
	v_fmac_f32_e32 v2, v59, v52
	s_delay_alu instid0(VALU_DEP_2) | instskip(NEXT) | instid1(VALU_DEP_2)
	v_fmac_f32_e32 v4, v59, v44
	v_dual_fmac_f32 v2, v60, v96 :: v_dual_fmac_f32 v1, v61, v57
	s_delay_alu instid0(VALU_DEP_2) | instskip(NEXT) | instid1(VALU_DEP_2)
	v_fmac_f32_e32 v4, v60, v88
	v_fmac_f32_e32 v2, v61, v53
	s_delay_alu instid0(VALU_DEP_2)
	v_fmac_f32_e32 v4, v61, v45
	s_cbranch_scc0 .LBB41_1
; %bb.2:
	v_mbcnt_lo_u32_b32 v14, -1, 0
	v_lshrrev_b32_e32 v18, 5, v0
	s_delay_alu instid0(VALU_DEP_2) | instskip(SKIP_1) | instid1(VALU_DEP_2)
	v_xor_b32_e32 v11, 16, v14
	v_xor_b32_e32 v12, 8, v14
	v_cmp_gt_i32_e32 vcc_lo, 32, v11
	v_cndmask_b32_e32 v11, v14, v11, vcc_lo
	s_delay_alu instid0(VALU_DEP_3) | instskip(SKIP_1) | instid1(VALU_DEP_1)
	v_cmp_gt_i32_e32 vcc_lo, 32, v12
	v_cndmask_b32_e32 v12, v14, v12, vcc_lo
	v_lshlrev_b32_e32 v12, 2, v12
	s_delay_alu instid0(VALU_DEP_4) | instskip(SKIP_4) | instid1(VALU_DEP_1)
	v_lshlrev_b32_e32 v11, 2, v11
	ds_bpermute_b32 v13, v11, v10
	s_waitcnt lgkmcnt(0)
	v_add_f32_e32 v13, v10, v13
	v_xor_b32_e32 v10, 4, v14
	v_cmp_gt_i32_e32 vcc_lo, 32, v10
	v_cndmask_b32_e32 v10, v14, v10, vcc_lo
	s_delay_alu instid0(VALU_DEP_1)
	v_lshlrev_b32_e32 v10, 2, v10
	ds_bpermute_b32 v15, v12, v13
	s_waitcnt lgkmcnt(0)
	v_add_f32_e32 v15, v13, v15
	v_xor_b32_e32 v13, 2, v14
	ds_bpermute_b32 v16, v10, v15
	v_cmp_gt_i32_e32 vcc_lo, 32, v13
	s_waitcnt lgkmcnt(0)
	v_dual_cndmask_b32 v13, v14, v13 :: v_dual_add_f32 v16, v15, v16
	v_xor_b32_e32 v15, 1, v14
	s_delay_alu instid0(VALU_DEP_1) | instskip(NEXT) | instid1(VALU_DEP_3)
	v_cmp_gt_i32_e32 vcc_lo, 32, v15
	v_dual_cndmask_b32 v14, v14, v15 :: v_dual_lshlrev_b32 v13, 2, v13
	ds_bpermute_b32 v17, v13, v16
	v_lshlrev_b32_e32 v15, 2, v14
	v_and_b32_e32 v14, 31, v0
	s_delay_alu instid0(VALU_DEP_1)
	v_cmp_eq_u32_e32 vcc_lo, 0, v14
	v_lshlrev_b32_e32 v14, 2, v18
	s_waitcnt lgkmcnt(0)
	v_add_f32_e32 v16, v16, v17
	ds_bpermute_b32 v17, v15, v16
	s_and_saveexec_b32 s2, vcc_lo
	s_cbranch_execz .LBB41_4
; %bb.3:
	s_waitcnt lgkmcnt(0)
	v_add_f32_e32 v16, v16, v17
	ds_store_b32 v14, v16
.LBB41_4:
	s_or_b32 exec_lo, exec_lo, s2
	ds_bpermute_b32 v16, v11, v9
	s_waitcnt lgkmcnt(0)
	v_add_f32_e32 v9, v9, v16
	ds_bpermute_b32 v16, v12, v9
	s_waitcnt lgkmcnt(0)
	v_add_f32_e32 v9, v9, v16
	ds_bpermute_b32 v16, v10, v9
	s_waitcnt lgkmcnt(0)
	v_add_f32_e32 v9, v9, v16
	ds_bpermute_b32 v16, v13, v9
	s_waitcnt lgkmcnt(0)
	v_add_f32_e32 v9, v9, v16
	ds_bpermute_b32 v16, v15, v9
	s_and_saveexec_b32 s2, vcc_lo
	s_cbranch_execz .LBB41_6
; %bb.5:
	s_waitcnt lgkmcnt(0)
	v_add_f32_e32 v9, v9, v16
	ds_store_b32 v14, v9 offset:16
.LBB41_6:
	s_or_b32 exec_lo, exec_lo, s2
	ds_bpermute_b32 v9, v11, v8
	s_waitcnt lgkmcnt(0)
	v_add_f32_e32 v8, v8, v9
	ds_bpermute_b32 v9, v12, v8
	s_waitcnt lgkmcnt(0)
	v_add_f32_e32 v8, v8, v9
	ds_bpermute_b32 v9, v10, v8
	s_waitcnt lgkmcnt(0)
	v_add_f32_e32 v8, v8, v9
	ds_bpermute_b32 v9, v13, v8
	s_waitcnt lgkmcnt(0)
	v_add_f32_e32 v8, v8, v9
	ds_bpermute_b32 v9, v15, v8
	s_and_saveexec_b32 s2, vcc_lo
	s_cbranch_execz .LBB41_8
; %bb.7:
	s_waitcnt lgkmcnt(0)
	v_add_f32_e32 v8, v8, v9
	ds_store_b32 v14, v8 offset:32
.LBB41_8:
	s_or_b32 exec_lo, exec_lo, s2
	ds_bpermute_b32 v8, v11, v7
	s_waitcnt lgkmcnt(0)
	v_add_f32_e32 v7, v7, v8
	ds_bpermute_b32 v8, v12, v7
	s_waitcnt lgkmcnt(0)
	v_add_f32_e32 v7, v7, v8
	ds_bpermute_b32 v8, v10, v7
	s_waitcnt lgkmcnt(0)
	v_add_f32_e32 v7, v7, v8
	ds_bpermute_b32 v8, v13, v7
	s_waitcnt lgkmcnt(0)
	v_add_f32_e32 v7, v7, v8
	ds_bpermute_b32 v8, v15, v7
	s_and_saveexec_b32 s2, vcc_lo
	s_cbranch_execz .LBB41_10
; %bb.9:
	s_waitcnt lgkmcnt(0)
	v_add_f32_e32 v7, v7, v8
	ds_store_b32 v14, v7 offset:48
.LBB41_10:
	s_or_b32 exec_lo, exec_lo, s2
	ds_bpermute_b32 v7, v11, v6
	s_waitcnt lgkmcnt(0)
	v_add_f32_e32 v6, v6, v7
	ds_bpermute_b32 v7, v12, v6
	s_waitcnt lgkmcnt(0)
	v_add_f32_e32 v6, v6, v7
	ds_bpermute_b32 v7, v10, v6
	s_waitcnt lgkmcnt(0)
	v_add_f32_e32 v6, v6, v7
	ds_bpermute_b32 v7, v13, v6
	s_waitcnt lgkmcnt(0)
	v_add_f32_e32 v6, v6, v7
	ds_bpermute_b32 v7, v15, v6
	s_and_saveexec_b32 s2, vcc_lo
	s_cbranch_execz .LBB41_12
; %bb.11:
	s_waitcnt lgkmcnt(0)
	v_add_f32_e32 v6, v6, v7
	ds_store_b32 v14, v6 offset:64
.LBB41_12:
	s_or_b32 exec_lo, exec_lo, s2
	ds_bpermute_b32 v6, v11, v5
	s_waitcnt lgkmcnt(0)
	v_add_f32_e32 v5, v5, v6
	ds_bpermute_b32 v6, v12, v5
	s_waitcnt lgkmcnt(0)
	v_add_f32_e32 v5, v5, v6
	ds_bpermute_b32 v6, v10, v5
	s_waitcnt lgkmcnt(0)
	v_add_f32_e32 v5, v5, v6
	ds_bpermute_b32 v6, v13, v5
	s_waitcnt lgkmcnt(0)
	v_add_f32_e32 v5, v5, v6
	ds_bpermute_b32 v6, v15, v5
	s_and_saveexec_b32 s2, vcc_lo
	s_cbranch_execz .LBB41_14
; %bb.13:
	s_waitcnt lgkmcnt(0)
	v_add_f32_e32 v5, v5, v6
	ds_store_b32 v14, v5 offset:80
.LBB41_14:
	s_or_b32 exec_lo, exec_lo, s2
	ds_bpermute_b32 v5, v11, v4
	s_waitcnt lgkmcnt(0)
	v_add_f32_e32 v4, v4, v5
	ds_bpermute_b32 v5, v12, v4
	s_waitcnt lgkmcnt(0)
	v_add_f32_e32 v4, v4, v5
	ds_bpermute_b32 v5, v10, v4
	s_waitcnt lgkmcnt(0)
	v_add_f32_e32 v4, v4, v5
	ds_bpermute_b32 v5, v13, v4
	s_waitcnt lgkmcnt(0)
	v_add_f32_e32 v4, v4, v5
	ds_bpermute_b32 v5, v15, v4
	s_and_saveexec_b32 s2, vcc_lo
	s_cbranch_execz .LBB41_16
; %bb.15:
	s_waitcnt lgkmcnt(0)
	v_add_f32_e32 v4, v4, v5
	ds_store_b32 v14, v4 offset:96
.LBB41_16:
	s_or_b32 exec_lo, exec_lo, s2
	ds_bpermute_b32 v4, v11, v3
	s_waitcnt lgkmcnt(0)
	v_add_f32_e32 v3, v3, v4
	ds_bpermute_b32 v4, v12, v3
	s_waitcnt lgkmcnt(0)
	v_add_f32_e32 v3, v3, v4
	ds_bpermute_b32 v4, v10, v3
	s_waitcnt lgkmcnt(0)
	v_add_f32_e32 v3, v3, v4
	ds_bpermute_b32 v4, v13, v3
	s_waitcnt lgkmcnt(0)
	v_add_f32_e32 v3, v3, v4
	ds_bpermute_b32 v4, v15, v3
	s_and_saveexec_b32 s2, vcc_lo
	s_cbranch_execz .LBB41_18
; %bb.17:
	s_waitcnt lgkmcnt(0)
	v_add_f32_e32 v3, v3, v4
	ds_store_b32 v14, v3 offset:112
.LBB41_18:
	s_or_b32 exec_lo, exec_lo, s2
	ds_bpermute_b32 v3, v11, v2
	s_waitcnt lgkmcnt(0)
	v_add_f32_e32 v2, v2, v3
	ds_bpermute_b32 v3, v12, v2
	s_waitcnt lgkmcnt(0)
	v_add_f32_e32 v2, v2, v3
	ds_bpermute_b32 v3, v10, v2
	s_waitcnt lgkmcnt(0)
	v_add_f32_e32 v2, v2, v3
	ds_bpermute_b32 v3, v13, v2
	s_waitcnt lgkmcnt(0)
	v_add_f32_e32 v2, v2, v3
	ds_bpermute_b32 v3, v15, v2
	s_and_saveexec_b32 s2, vcc_lo
	s_cbranch_execz .LBB41_20
; %bb.19:
	s_waitcnt lgkmcnt(0)
	v_add_f32_e32 v2, v2, v3
	ds_store_b32 v14, v2 offset:128
.LBB41_20:
	s_or_b32 exec_lo, exec_lo, s2
	ds_bpermute_b32 v2, v11, v1
	s_waitcnt lgkmcnt(0)
	v_add_f32_e32 v1, v1, v2
	ds_bpermute_b32 v2, v12, v1
	s_waitcnt lgkmcnt(0)
	v_add_f32_e32 v1, v1, v2
	ds_bpermute_b32 v2, v10, v1
	s_waitcnt lgkmcnt(0)
	v_add_f32_e32 v1, v1, v2
	ds_bpermute_b32 v2, v13, v1
	s_waitcnt lgkmcnt(0)
	v_add_f32_e32 v1, v1, v2
	ds_bpermute_b32 v2, v15, v1
	s_and_saveexec_b32 s2, vcc_lo
	s_cbranch_execz .LBB41_22
; %bb.21:
	s_waitcnt lgkmcnt(0)
	v_add_f32_e32 v1, v1, v2
	ds_store_b32 v14, v1 offset:144
.LBB41_22:
	s_or_b32 exec_lo, exec_lo, s2
	s_waitcnt lgkmcnt(0)
	s_barrier
	buffer_gl0_inv
	s_mov_b32 s2, exec_lo
	v_cmpx_eq_u32_e32 0, v0
	s_cbranch_execz .LBB41_24
; %bb.23:
	v_dual_mov_b32 v40, 0 :: v_dual_mov_b32 v41, 0x1000
	s_ashr_i32 s5, s4, 31
	ds_load_b128 v[0:3], v40
	ds_load_b128 v[4:7], v40 offset:16
	ds_load_b128 v[8:11], v40 offset:32
	;; [unrolled: 1-line block ×9, first 2 shown]
	s_lshl_b64 s[2:3], s[4:5], 2
	s_delay_alu instid0(SALU_CYCLE_1)
	s_add_u32 s0, s0, s2
	s_addc_u32 s1, s1, s3
	s_waitcnt lgkmcnt(6)
	v_add_f32_e32 v12, 0, v12
	v_add_f32_e32 v4, 0, v4
	;; [unrolled: 1-line block ×3, first 2 shown]
	s_waitcnt lgkmcnt(5)
	v_add_f32_e32 v16, 0, v16
	s_delay_alu instid0(VALU_DEP_2) | instskip(SKIP_1) | instid1(VALU_DEP_2)
	v_add_f32_e32 v0, v0, v1
	v_add_f32_e32 v1, v4, v5
	;; [unrolled: 1-line block ×3, first 2 shown]
	s_waitcnt lgkmcnt(4)
	s_delay_alu instid0(VALU_DEP_2) | instskip(SKIP_1) | instid1(VALU_DEP_3)
	v_dual_add_f32 v1, v1, v6 :: v_dual_add_f32 v20, 0, v20
	v_add_f32_e32 v5, v12, v13
	v_add_f32_e32 v0, v0, v3
	s_delay_alu instid0(VALU_DEP_3) | instskip(NEXT) | instid1(VALU_DEP_1)
	v_dual_add_f32 v1, v1, v7 :: v_dual_add_f32 v8, 0, v8
	v_add_f32_e32 v4, v8, v9
	s_waitcnt lgkmcnt(2)
	v_dual_add_f32 v9, v20, v21 :: v_dual_add_f32 v28, 0, v28
	s_waitcnt lgkmcnt(1)
	s_delay_alu instid0(VALU_DEP_1) | instskip(NEXT) | instid1(VALU_DEP_2)
	v_dual_add_f32 v9, v9, v22 :: v_dual_add_f32 v32, 0, v32
	v_add_f32_e32 v7, v28, v29
	s_delay_alu instid0(VALU_DEP_2) | instskip(NEXT) | instid1(VALU_DEP_2)
	v_dual_add_f32 v8, v16, v17 :: v_dual_add_f32 v9, v9, v23
	v_add_f32_e32 v7, v7, v30
	v_add_f32_e32 v2, v4, v10
	;; [unrolled: 1-line block ×3, first 2 shown]
	s_delay_alu instid0(VALU_DEP_4) | instskip(NEXT) | instid1(VALU_DEP_4)
	v_dual_add_f32 v5, v8, v18 :: v_dual_add_f32 v24, 0, v24
	v_dual_add_f32 v8, v32, v33 :: v_dual_add_f32 v7, v7, v31
	s_delay_alu instid0(VALU_DEP_3) | instskip(SKIP_1) | instid1(VALU_DEP_3)
	v_add_f32_e32 v3, v4, v15
	s_waitcnt lgkmcnt(0)
	v_dual_add_f32 v4, v5, v19 :: v_dual_add_f32 v5, 0, v36
	s_delay_alu instid0(VALU_DEP_3) | instskip(SKIP_1) | instid1(VALU_DEP_3)
	v_add_f32_e32 v8, v8, v34
	v_add_f32_e32 v2, v2, v11
	v_dual_mov_b32 v10, 0x2000 :: v_dual_add_f32 v5, v5, v37
	s_delay_alu instid0(VALU_DEP_1) | instskip(NEXT) | instid1(VALU_DEP_1)
	v_dual_add_f32 v8, v8, v35 :: v_dual_add_f32 v5, v5, v38
	v_dual_add_f32 v6, v24, v25 :: v_dual_add_f32 v5, v5, v39
	s_delay_alu instid0(VALU_DEP_1) | instskip(NEXT) | instid1(VALU_DEP_1)
	v_add_f32_e32 v6, v6, v26
	v_add_f32_e32 v6, v6, v27
	s_clause 0x9
	global_store_b32 v40, v0, s[0:1]
	global_store_b32 v40, v1, s[0:1] offset:1024
	global_store_b32 v40, v2, s[0:1] offset:2048
	;; [unrolled: 1-line block ×3, first 2 shown]
	global_store_b32 v41, v4, s[0:1]
	global_store_b32 v41, v9, s[0:1] offset:1024
	global_store_b32 v41, v6, s[0:1] offset:2048
	;; [unrolled: 1-line block ×3, first 2 shown]
	global_store_b32 v10, v8, s[0:1]
	global_store_b32 v10, v5, s[0:1] offset:1024
.LBB41_24:
	s_nop 0
	s_sendmsg sendmsg(MSG_DEALLOC_VGPRS)
	s_endpgm
	.section	.rodata,"a",@progbits
	.p2align	6, 0x0
	.amdhsa_kernel _Z23fp32_router_gemm_kernelI14__hip_bfloat16Li128ELi10ELi256ELi3072EEvPfPKT_PKf
		.amdhsa_group_segment_fixed_size 160
		.amdhsa_private_segment_fixed_size 0
		.amdhsa_kernarg_size 24
		.amdhsa_user_sgpr_count 15
		.amdhsa_user_sgpr_dispatch_ptr 0
		.amdhsa_user_sgpr_queue_ptr 0
		.amdhsa_user_sgpr_kernarg_segment_ptr 1
		.amdhsa_user_sgpr_dispatch_id 0
		.amdhsa_user_sgpr_private_segment_size 0
		.amdhsa_wavefront_size32 1
		.amdhsa_uses_dynamic_stack 0
		.amdhsa_enable_private_segment 0
		.amdhsa_system_sgpr_workgroup_id_x 1
		.amdhsa_system_sgpr_workgroup_id_y 0
		.amdhsa_system_sgpr_workgroup_id_z 0
		.amdhsa_system_sgpr_workgroup_info 0
		.amdhsa_system_vgpr_workitem_id 0
		.amdhsa_next_free_vgpr 100
		.amdhsa_next_free_sgpr 16
		.amdhsa_reserve_vcc 1
		.amdhsa_float_round_mode_32 0
		.amdhsa_float_round_mode_16_64 0
		.amdhsa_float_denorm_mode_32 3
		.amdhsa_float_denorm_mode_16_64 3
		.amdhsa_dx10_clamp 1
		.amdhsa_ieee_mode 1
		.amdhsa_fp16_overflow 0
		.amdhsa_workgroup_processor_mode 1
		.amdhsa_memory_ordered 1
		.amdhsa_forward_progress 0
		.amdhsa_shared_vgpr_count 0
		.amdhsa_exception_fp_ieee_invalid_op 0
		.amdhsa_exception_fp_denorm_src 0
		.amdhsa_exception_fp_ieee_div_zero 0
		.amdhsa_exception_fp_ieee_overflow 0
		.amdhsa_exception_fp_ieee_underflow 0
		.amdhsa_exception_fp_ieee_inexact 0
		.amdhsa_exception_int_div_zero 0
	.end_amdhsa_kernel
	.section	.text._Z23fp32_router_gemm_kernelI14__hip_bfloat16Li128ELi10ELi256ELi3072EEvPfPKT_PKf,"axG",@progbits,_Z23fp32_router_gemm_kernelI14__hip_bfloat16Li128ELi10ELi256ELi3072EEvPfPKT_PKf,comdat
.Lfunc_end41:
	.size	_Z23fp32_router_gemm_kernelI14__hip_bfloat16Li128ELi10ELi256ELi3072EEvPfPKT_PKf, .Lfunc_end41-_Z23fp32_router_gemm_kernelI14__hip_bfloat16Li128ELi10ELi256ELi3072EEvPfPKT_PKf
                                        ; -- End function
	.section	.AMDGPU.csdata,"",@progbits
; Kernel info:
; codeLenInByte = 2956
; NumSgprs: 18
; NumVgprs: 100
; ScratchSize: 0
; MemoryBound: 0
; FloatMode: 240
; IeeeMode: 1
; LDSByteSize: 160 bytes/workgroup (compile time only)
; SGPRBlocks: 2
; VGPRBlocks: 12
; NumSGPRsForWavesPerEU: 18
; NumVGPRsForWavesPerEU: 100
; Occupancy: 12
; WaveLimiterHint : 1
; COMPUTE_PGM_RSRC2:SCRATCH_EN: 0
; COMPUTE_PGM_RSRC2:USER_SGPR: 15
; COMPUTE_PGM_RSRC2:TRAP_HANDLER: 0
; COMPUTE_PGM_RSRC2:TGID_X_EN: 1
; COMPUTE_PGM_RSRC2:TGID_Y_EN: 0
; COMPUTE_PGM_RSRC2:TGID_Z_EN: 0
; COMPUTE_PGM_RSRC2:TIDIG_COMP_CNT: 0
	.section	.text._Z23fp32_router_gemm_kernelI14__hip_bfloat16Li128ELi11ELi256ELi3072EEvPfPKT_PKf,"axG",@progbits,_Z23fp32_router_gemm_kernelI14__hip_bfloat16Li128ELi11ELi256ELi3072EEvPfPKT_PKf,comdat
	.protected	_Z23fp32_router_gemm_kernelI14__hip_bfloat16Li128ELi11ELi256ELi3072EEvPfPKT_PKf ; -- Begin function _Z23fp32_router_gemm_kernelI14__hip_bfloat16Li128ELi11ELi256ELi3072EEvPfPKT_PKf
	.globl	_Z23fp32_router_gemm_kernelI14__hip_bfloat16Li128ELi11ELi256ELi3072EEvPfPKT_PKf
	.p2align	8
	.type	_Z23fp32_router_gemm_kernelI14__hip_bfloat16Li128ELi11ELi256ELi3072EEvPfPKT_PKf,@function
_Z23fp32_router_gemm_kernelI14__hip_bfloat16Li128ELi11ELi256ELi3072EEvPfPKT_PKf: ; @_Z23fp32_router_gemm_kernelI14__hip_bfloat16Li128ELi11ELi256ELi3072EEvPfPKT_PKf
; %bb.0:
	s_clause 0x1
	s_load_b64 s[6:7], s[0:1], 0x10
	s_load_b128 s[0:3], s[0:1], 0x0
	v_dual_mov_b32 v3, 0 :: v_dual_lshlrev_b32 v12, 3, v0
	s_mul_i32 s8, s15, 0xc00
	v_dual_mov_b32 v11, 0 :: v_dual_mov_b32 v10, 0
	s_ashr_i32 s9, s8, 31
	v_dual_mov_b32 v9, 0 :: v_dual_mov_b32 v8, 0
	v_dual_mov_b32 v7, 0 :: v_dual_mov_b32 v6, 0
	;; [unrolled: 1-line block ×4, first 2 shown]
	s_lshl_b64 s[8:9], s[8:9], 2
	v_or_b32_e32 v13, 0x400, v12
	v_or_b32_e32 v14, 0x800, v12
	s_mov_b32 s4, s15
	s_waitcnt lgkmcnt(0)
	s_add_u32 s6, s6, s8
	s_addc_u32 s7, s7, s9
	s_mov_b64 s[8:9], 0
.LBB42_1:                               ; =>This Inner Loop Header: Depth=1
	s_delay_alu instid0(SALU_CYCLE_1)
	s_cmp_eq_u32 s8, 1
	s_cselect_b32 vcc_lo, -1, 0
	s_cmp_eq_u32 s8, 2
	v_cndmask_b32_e32 v15, v12, v13, vcc_lo
	s_cselect_b32 vcc_lo, -1, 0
	s_add_u32 s8, s8, 1
	s_addc_u32 s9, s9, 0
	s_cmp_eq_u32 s8, 3
	v_cndmask_b32_e32 v15, v15, v14, vcc_lo
	s_delay_alu instid0(VALU_DEP_1) | instskip(SKIP_1) | instid1(VALU_DEP_2)
	v_lshlrev_b32_e32 v19, 1, v15
	v_lshlrev_b32_e32 v63, 2, v15
	v_add_co_u32 v25, s5, s2, v19
	s_delay_alu instid0(VALU_DEP_1)
	v_add_co_ci_u32_e64 v26, null, s3, 0, s5
	global_load_b128 v[15:18], v19, s[2:3]
	v_add_co_u32 v23, vcc_lo, 0x1000, v25
	v_add_co_ci_u32_e32 v24, vcc_lo, 0, v26, vcc_lo
	v_add_co_u32 v27, vcc_lo, 0x3000, v25
	v_add_co_ci_u32_e32 v28, vcc_lo, 0, v26, vcc_lo
	;; [unrolled: 2-line block ×9, first 2 shown]
	v_add_co_u32 v59, vcc_lo, 0xf000, v25
	global_load_b128 v[19:22], v63, s[6:7]
	v_add_co_ci_u32_e32 v60, vcc_lo, 0, v26, vcc_lo
	s_clause 0x9
	global_load_b128 v[23:26], v[23:24], off offset:2048
	global_load_b128 v[27:30], v[27:28], off
	global_load_b128 v[31:34], v[31:32], off offset:2048
	global_load_b128 v[35:38], v[35:36], off
	;; [unrolled: 2-line block ×5, first 2 shown]
	global_load_b128 v[63:66], v63, s[6:7] offset:16
	s_waitcnt vmcnt(12)
	v_lshlrev_b32_e32 v68, 16, v16
	v_and_b32_e32 v16, 0xffff0000, v16
	s_waitcnt vmcnt(6)
	v_lshlrev_b32_e32 v86, 16, v39
	v_lshlrev_b32_e32 v67, 16, v15
	s_waitcnt vmcnt(4)
	v_lshlrev_b32_e32 v95, 16, v48
	s_waitcnt vmcnt(3)
	;; [unrolled: 2-line block ×3, first 2 shown]
	v_lshlrev_b32_e32 v105, 16, v58
	v_lshlrev_b32_e32 v99, 16, v52
	v_and_b32_e32 v52, 0xffff0000, v52
	v_lshlrev_b32_e32 v94, 16, v47
	v_dual_fmac_f32 v6, v19, v86 :: v_dual_and_b32 v15, 0xffff0000, v15
	v_dual_fmac_f32 v11, v19, v67 :: v_dual_lshlrev_b32 v70, 16, v18
	s_waitcnt vmcnt(1)
	s_delay_alu instid0(VALU_DEP_3)
	v_dual_fmac_f32 v4, v19, v94 :: v_dual_lshlrev_b32 v107, 16, v60
	v_and_b32_e32 v18, 0xffff0000, v18
	v_lshlrev_b32_e32 v106, 16, v59
	v_fmac_f32_e32 v11, v20, v15
	v_lshlrev_b32_e32 v15, 16, v61
	v_and_b32_e32 v61, 0xffff0000, v61
	v_and_b32_e32 v60, 0xffff0000, v60
	v_lshlrev_b32_e32 v96, 16, v49
	v_and_b32_e32 v39, 0xffff0000, v39
	v_lshlrev_b32_e32 v73, 16, v26
	;; [unrolled: 2-line block ×3, first 2 shown]
	v_dual_fmac_f32 v11, v21, v68 :: v_dual_lshlrev_b32 v72, 16, v25
	v_dual_fmac_f32 v1, v19, v106 :: v_dual_lshlrev_b32 v78, 16, v31
	s_delay_alu instid0(VALU_DEP_4) | instskip(SKIP_1) | instid1(VALU_DEP_4)
	v_dual_fmac_f32 v4, v20, v47 :: v_dual_lshlrev_b32 v81, 16, v34
	v_and_b32_e32 v48, 0xffff0000, v48
	v_dual_fmac_f32 v11, v22, v16 :: v_dual_and_b32 v26, 0xffff0000, v26
	s_delay_alu instid0(VALU_DEP_3)
	v_fmac_f32_e32 v4, v21, v95
	v_lshlrev_b32_e32 v82, 16, v35
	v_lshlrev_b32_e32 v74, 16, v27
	v_and_b32_e32 v27, 0xffff0000, v27
	v_and_b32_e32 v58, 0xffff0000, v58
	v_lshlrev_b32_e32 v103, 16, v56
	v_and_b32_e32 v56, 0xffff0000, v56
	v_dual_fmac_f32 v8, v19, v78 :: v_dual_and_b32 v31, 0xffff0000, v31
	v_dual_fmac_f32 v4, v22, v48 :: v_dual_and_b32 v25, 0xffff0000, v25
	v_dual_fmac_f32 v3, v19, v98 :: v_dual_lshlrev_b32 v76, 16, v29
	v_lshlrev_b32_e32 v90, 16, v43
	v_and_b32_e32 v51, 0xffff0000, v51
	v_dual_fmac_f32 v8, v20, v31 :: v_dual_lshlrev_b32 v87, 16, v40
	s_waitcnt vmcnt(0)
	v_fmac_f32_e32 v4, v63, v96
	v_dual_fmac_f32 v6, v20, v39 :: v_dual_lshlrev_b32 v79, 16, v32
	v_dual_fmac_f32 v5, v19, v90 :: v_dual_and_b32 v28, 0xffff0000, v28
	v_dual_fmac_f32 v3, v20, v51 :: v_dual_and_b32 v34, 0xffff0000, v34
	v_and_b32_e32 v35, 0xffff0000, v35
	v_and_b32_e32 v43, 0xffff0000, v43
	v_lshlrev_b32_e32 v80, 16, v33
	v_and_b32_e32 v49, 0xffff0000, v49
	v_dual_fmac_f32 v7, v19, v82 :: v_dual_lshlrev_b32 v102, 16, v55
	v_and_b32_e32 v32, 0xffff0000, v32
	v_dual_fmac_f32 v6, v21, v87 :: v_dual_and_b32 v33, 0xffff0000, v33
	v_dual_fmac_f32 v8, v21, v79 :: v_dual_lshlrev_b32 v91, 16, v44
	v_dual_fmac_f32 v4, v64, v49 :: v_dual_and_b32 v55, 0xffff0000, v55
	v_dual_fmac_f32 v2, v19, v102 :: v_dual_and_b32 v59, 0xffff0000, v59
	v_fmac_f32_e32 v7, v20, v35
	s_delay_alu instid0(VALU_DEP_4)
	v_dual_fmac_f32 v8, v22, v32 :: v_dual_lshlrev_b32 v67, 16, v23
	v_lshlrev_b32_e32 v69, 16, v17
	v_and_b32_e32 v17, 0xffff0000, v17
	v_dual_fmac_f32 v5, v20, v43 :: v_dual_and_b32 v40, 0xffff0000, v40
	v_dual_fmac_f32 v2, v20, v55 :: v_dual_and_b32 v29, 0xffff0000, v29
	v_lshlrev_b32_e32 v83, 16, v36
	v_dual_fmac_f32 v1, v20, v59 :: v_dual_and_b32 v36, 0xffff0000, v36
	v_fmac_f32_e32 v10, v19, v67
	v_fmac_f32_e32 v9, v19, v74
	;; [unrolled: 1-line block ×3, first 2 shown]
	v_dual_fmac_f32 v6, v22, v40 :: v_dual_and_b32 v23, 0xffff0000, v23
	v_lshlrev_b32_e32 v71, 16, v24
	s_delay_alu instid0(VALU_DEP_4)
	v_dual_fmac_f32 v9, v20, v27 :: v_dual_and_b32 v24, 0xffff0000, v24
	v_lshlrev_b32_e32 v84, 16, v37
	v_dual_fmac_f32 v8, v63, v80 :: v_dual_and_b32 v37, 0xffff0000, v37
	v_lshlrev_b32_e32 v89, 16, v42
	v_dual_fmac_f32 v1, v21, v107 :: v_dual_and_b32 v42, 0xffff0000, v42
	v_dual_fmac_f32 v10, v20, v23 :: v_dual_lshlrev_b32 v77, 16, v30
	v_and_b32_e32 v30, 0xffff0000, v30
	s_delay_alu instid0(VALU_DEP_3) | instskip(NEXT) | instid1(VALU_DEP_3)
	v_dual_fmac_f32 v2, v21, v103 :: v_dual_fmac_f32 v1, v22, v60
	v_fmac_f32_e32 v10, v21, v71
	v_lshlrev_b32_e32 v108, 16, v62
	v_lshlrev_b32_e32 v88, 16, v41
	s_delay_alu instid0(VALU_DEP_4) | instskip(NEXT) | instid1(VALU_DEP_4)
	v_dual_fmac_f32 v2, v22, v56 :: v_dual_fmac_f32 v1, v63, v15
	v_dual_fmac_f32 v11, v63, v69 :: v_dual_fmac_f32 v10, v22, v24
	v_fmac_f32_e32 v9, v21, v75
	v_fmac_f32_e32 v7, v21, v83
	s_delay_alu instid0(VALU_DEP_4) | instskip(SKIP_3) | instid1(VALU_DEP_4)
	v_fmac_f32_e32 v1, v64, v61
	v_lshlrev_b32_e32 v104, 16, v57
	v_and_b32_e32 v57, 0xffff0000, v57
	v_dual_fmac_f32 v11, v64, v17 :: v_dual_and_b32 v44, 0xffff0000, v44
	v_fmac_f32_e32 v1, v65, v108
	s_delay_alu instid0(VALU_DEP_4) | instskip(SKIP_1) | instid1(VALU_DEP_4)
	v_dual_fmac_f32 v2, v63, v104 :: v_dual_and_b32 v41, 0xffff0000, v41
	v_lshlrev_b32_e32 v93, 16, v46
	v_dual_fmac_f32 v11, v65, v70 :: v_dual_fmac_f32 v10, v63, v72
	v_dual_fmac_f32 v7, v22, v36 :: v_dual_lshlrev_b32 v92, 16, v45
	s_delay_alu instid0(VALU_DEP_4) | instskip(SKIP_2) | instid1(VALU_DEP_3)
	v_fmac_f32_e32 v2, v64, v57
	v_dual_fmac_f32 v5, v22, v44 :: v_dual_and_b32 v46, 0xffff0000, v46
	v_dual_fmac_f32 v9, v22, v28 :: v_dual_lshlrev_b32 v100, 16, v53
	v_fmac_f32_e32 v2, v65, v105
	v_fmac_f32_e32 v3, v21, v99
	s_delay_alu instid0(VALU_DEP_4) | instskip(SKIP_4) | instid1(VALU_DEP_4)
	v_fmac_f32_e32 v5, v63, v92
	v_dual_fmac_f32 v6, v63, v88 :: v_dual_lshlrev_b32 v85, 16, v38
	v_and_b32_e32 v38, 0xffff0000, v38
	v_fmac_f32_e32 v11, v66, v18
	v_dual_fmac_f32 v3, v22, v52 :: v_dual_fmac_f32 v10, v64, v25
	v_dual_fmac_f32 v6, v64, v41 :: v_dual_lshlrev_b32 v101, 16, v54
	s_delay_alu instid0(VALU_DEP_2) | instskip(SKIP_2) | instid1(VALU_DEP_4)
	v_dual_fmac_f32 v3, v63, v100 :: v_dual_and_b32 v54, 0xffff0000, v54
	v_fmac_f32_e32 v9, v63, v76
	v_dual_fmac_f32 v7, v63, v84 :: v_dual_fmac_f32 v8, v64, v33
	v_dual_fmac_f32 v6, v65, v89 :: v_dual_lshlrev_b32 v97, 16, v50
	v_and_b32_e32 v50, 0xffff0000, v50
	v_and_b32_e32 v53, 0xffff0000, v53
	v_fmac_f32_e32 v10, v65, v73
	v_and_b32_e32 v45, 0xffff0000, v45
	v_fmac_f32_e32 v9, v64, v29
	v_dual_fmac_f32 v7, v64, v37 :: v_dual_fmac_f32 v6, v66, v42
	s_delay_alu instid0(VALU_DEP_3) | instskip(SKIP_1) | instid1(VALU_DEP_3)
	v_dual_fmac_f32 v10, v66, v26 :: v_dual_fmac_f32 v5, v64, v45
	v_dual_fmac_f32 v3, v64, v53 :: v_dual_and_b32 v62, 0xffff0000, v62
	v_fmac_f32_e32 v7, v65, v85
	v_fmac_f32_e32 v9, v65, v77
	v_fmac_f32_e32 v8, v65, v81
	v_fmac_f32_e32 v5, v65, v93
	v_fmac_f32_e32 v4, v65, v97
	v_fmac_f32_e32 v3, v65, v101
	v_fmac_f32_e32 v9, v66, v30
	v_fmac_f32_e32 v8, v66, v34
	v_fmac_f32_e32 v7, v66, v38
	v_fmac_f32_e32 v5, v66, v46
	v_fmac_f32_e32 v4, v66, v50
	v_fmac_f32_e32 v3, v66, v54
	v_fmac_f32_e32 v2, v66, v58
	v_fmac_f32_e32 v1, v66, v62
	s_cbranch_scc0 .LBB42_1
; %bb.2:
	v_mbcnt_lo_u32_b32 v15, -1, 0
	v_lshrrev_b32_e32 v19, 5, v0
	s_delay_alu instid0(VALU_DEP_2) | instskip(SKIP_1) | instid1(VALU_DEP_2)
	v_xor_b32_e32 v12, 16, v15
	v_xor_b32_e32 v13, 8, v15
	v_cmp_gt_i32_e32 vcc_lo, 32, v12
	v_cndmask_b32_e32 v12, v15, v12, vcc_lo
	s_delay_alu instid0(VALU_DEP_3) | instskip(SKIP_1) | instid1(VALU_DEP_1)
	v_cmp_gt_i32_e32 vcc_lo, 32, v13
	v_cndmask_b32_e32 v13, v15, v13, vcc_lo
	v_lshlrev_b32_e32 v13, 2, v13
	s_delay_alu instid0(VALU_DEP_4) | instskip(SKIP_4) | instid1(VALU_DEP_1)
	v_lshlrev_b32_e32 v12, 2, v12
	ds_bpermute_b32 v14, v12, v11
	s_waitcnt lgkmcnt(0)
	v_add_f32_e32 v14, v11, v14
	v_xor_b32_e32 v11, 4, v15
	v_cmp_gt_i32_e32 vcc_lo, 32, v11
	v_cndmask_b32_e32 v11, v15, v11, vcc_lo
	s_delay_alu instid0(VALU_DEP_1)
	v_lshlrev_b32_e32 v11, 2, v11
	ds_bpermute_b32 v16, v13, v14
	s_waitcnt lgkmcnt(0)
	v_add_f32_e32 v16, v14, v16
	v_xor_b32_e32 v14, 2, v15
	ds_bpermute_b32 v17, v11, v16
	v_cmp_gt_i32_e32 vcc_lo, 32, v14
	s_waitcnt lgkmcnt(0)
	v_dual_cndmask_b32 v14, v15, v14 :: v_dual_add_f32 v17, v16, v17
	v_xor_b32_e32 v16, 1, v15
	s_delay_alu instid0(VALU_DEP_1) | instskip(NEXT) | instid1(VALU_DEP_3)
	v_cmp_gt_i32_e32 vcc_lo, 32, v16
	v_dual_cndmask_b32 v15, v15, v16 :: v_dual_lshlrev_b32 v14, 2, v14
	ds_bpermute_b32 v18, v14, v17
	v_lshlrev_b32_e32 v16, 2, v15
	v_and_b32_e32 v15, 31, v0
	s_delay_alu instid0(VALU_DEP_1)
	v_cmp_eq_u32_e32 vcc_lo, 0, v15
	v_lshlrev_b32_e32 v15, 2, v19
	s_waitcnt lgkmcnt(0)
	v_add_f32_e32 v17, v17, v18
	ds_bpermute_b32 v18, v16, v17
	s_and_saveexec_b32 s2, vcc_lo
	s_cbranch_execz .LBB42_4
; %bb.3:
	s_waitcnt lgkmcnt(0)
	v_add_f32_e32 v17, v17, v18
	ds_store_b32 v15, v17
.LBB42_4:
	s_or_b32 exec_lo, exec_lo, s2
	ds_bpermute_b32 v17, v12, v10
	s_waitcnt lgkmcnt(0)
	v_add_f32_e32 v10, v10, v17
	ds_bpermute_b32 v17, v13, v10
	s_waitcnt lgkmcnt(0)
	v_add_f32_e32 v10, v10, v17
	ds_bpermute_b32 v17, v11, v10
	s_waitcnt lgkmcnt(0)
	v_add_f32_e32 v10, v10, v17
	ds_bpermute_b32 v17, v14, v10
	s_waitcnt lgkmcnt(0)
	v_add_f32_e32 v10, v10, v17
	ds_bpermute_b32 v17, v16, v10
	s_and_saveexec_b32 s2, vcc_lo
	s_cbranch_execz .LBB42_6
; %bb.5:
	s_waitcnt lgkmcnt(0)
	v_add_f32_e32 v10, v10, v17
	ds_store_b32 v15, v10 offset:16
.LBB42_6:
	s_or_b32 exec_lo, exec_lo, s2
	ds_bpermute_b32 v10, v12, v9
	s_waitcnt lgkmcnt(0)
	v_add_f32_e32 v9, v9, v10
	ds_bpermute_b32 v10, v13, v9
	s_waitcnt lgkmcnt(0)
	v_add_f32_e32 v9, v9, v10
	ds_bpermute_b32 v10, v11, v9
	s_waitcnt lgkmcnt(0)
	v_add_f32_e32 v9, v9, v10
	ds_bpermute_b32 v10, v14, v9
	s_waitcnt lgkmcnt(0)
	v_add_f32_e32 v9, v9, v10
	ds_bpermute_b32 v10, v16, v9
	s_and_saveexec_b32 s2, vcc_lo
	s_cbranch_execz .LBB42_8
; %bb.7:
	s_waitcnt lgkmcnt(0)
	v_add_f32_e32 v9, v9, v10
	ds_store_b32 v15, v9 offset:32
.LBB42_8:
	;; [unrolled: 21-line block ×10, first 2 shown]
	s_or_b32 exec_lo, exec_lo, s2
	s_waitcnt lgkmcnt(0)
	s_barrier
	buffer_gl0_inv
	s_mov_b32 s2, exec_lo
	v_cmpx_eq_u32_e32 0, v0
	s_cbranch_execz .LBB42_26
; %bb.25:
	v_dual_mov_b32 v44, 0 :: v_dual_mov_b32 v45, 0x1000
	s_ashr_i32 s5, s4, 31
	ds_load_b128 v[0:3], v44
	ds_load_b128 v[4:7], v44 offset:16
	ds_load_b128 v[8:11], v44 offset:32
	;; [unrolled: 1-line block ×10, first 2 shown]
	s_lshl_b64 s[2:3], s[4:5], 2
	s_delay_alu instid0(SALU_CYCLE_1)
	s_add_u32 s0, s0, s2
	s_addc_u32 s1, s1, s3
	s_waitcnt lgkmcnt(7)
	v_add_f32_e32 v12, 0, v12
	v_add_f32_e32 v4, 0, v4
	;; [unrolled: 1-line block ×3, first 2 shown]
	s_waitcnt lgkmcnt(6)
	v_add_f32_e32 v16, 0, v16
	s_delay_alu instid0(VALU_DEP_2) | instskip(SKIP_2) | instid1(VALU_DEP_1)
	v_add_f32_e32 v0, v0, v1
	v_add_f32_e32 v1, v4, v5
	s_waitcnt lgkmcnt(5)
	v_dual_add_f32 v1, v1, v6 :: v_dual_add_f32 v20, 0, v20
	v_add_f32_e32 v5, v12, v13
	s_delay_alu instid0(VALU_DEP_2) | instskip(SKIP_2) | instid1(VALU_DEP_2)
	v_dual_add_f32 v1, v1, v7 :: v_dual_add_f32 v8, 0, v8
	s_waitcnt lgkmcnt(2)
	v_dual_add_f32 v7, 0, v32 :: v_dual_add_f32 v0, v0, v2
	v_add_f32_e32 v4, v8, v9
	v_add_f32_e32 v9, v20, v21
	;; [unrolled: 1-line block ×3, first 2 shown]
	s_delay_alu instid0(VALU_DEP_4) | instskip(SKIP_1) | instid1(VALU_DEP_3)
	v_dual_add_f32 v7, v7, v33 :: v_dual_add_f32 v0, v0, v3
	s_waitcnt lgkmcnt(1)
	v_dual_add_f32 v6, v9, v22 :: v_dual_add_f32 v9, 0, v36
	v_add_f32_e32 v2, v4, v10
	s_delay_alu instid0(VALU_DEP_3) | instskip(SKIP_2) | instid1(VALU_DEP_4)
	v_add_f32_e32 v7, v7, v34
	v_add_f32_e32 v4, v5, v14
	;; [unrolled: 1-line block ×3, first 2 shown]
	v_dual_add_f32 v9, v9, v37 :: v_dual_add_f32 v2, v2, v11
	s_waitcnt lgkmcnt(0)
	v_dual_add_f32 v10, 0, v40 :: v_dual_add_f32 v7, v7, v35
	v_dual_add_f32 v24, 0, v24 :: v_dual_add_f32 v3, v4, v15
	v_add_f32_e32 v4, v5, v19
	v_add_f32_e32 v9, v9, v38
	v_mov_b32_e32 v11, 0x2000
	v_dual_add_f32 v5, v6, v23 :: v_dual_add_f32 v6, 0, v28
	s_delay_alu instid0(VALU_DEP_3) | instskip(SKIP_1) | instid1(VALU_DEP_3)
	v_dual_add_f32 v8, v24, v25 :: v_dual_add_f32 v9, v9, v39
	v_add_f32_e32 v10, v10, v41
	v_add_f32_e32 v6, v6, v29
	s_delay_alu instid0(VALU_DEP_3) | instskip(NEXT) | instid1(VALU_DEP_3)
	v_add_f32_e32 v8, v8, v26
	v_add_f32_e32 v10, v10, v42
	s_delay_alu instid0(VALU_DEP_3) | instskip(NEXT) | instid1(VALU_DEP_3)
	;; [unrolled: 3-line block ×3, first 2 shown]
	v_add_f32_e32 v10, v10, v43
	v_add_f32_e32 v6, v6, v31
	s_clause 0xa
	global_store_b32 v44, v0, s[0:1]
	global_store_b32 v44, v1, s[0:1] offset:1024
	global_store_b32 v44, v2, s[0:1] offset:2048
	;; [unrolled: 1-line block ×3, first 2 shown]
	global_store_b32 v45, v4, s[0:1]
	global_store_b32 v45, v5, s[0:1] offset:1024
	global_store_b32 v45, v8, s[0:1] offset:2048
	;; [unrolled: 1-line block ×3, first 2 shown]
	global_store_b32 v11, v7, s[0:1]
	global_store_b32 v11, v9, s[0:1] offset:1024
	global_store_b32 v11, v10, s[0:1] offset:2048
.LBB42_26:
	s_nop 0
	s_sendmsg sendmsg(MSG_DEALLOC_VGPRS)
	s_endpgm
	.section	.rodata,"a",@progbits
	.p2align	6, 0x0
	.amdhsa_kernel _Z23fp32_router_gemm_kernelI14__hip_bfloat16Li128ELi11ELi256ELi3072EEvPfPKT_PKf
		.amdhsa_group_segment_fixed_size 176
		.amdhsa_private_segment_fixed_size 0
		.amdhsa_kernarg_size 24
		.amdhsa_user_sgpr_count 15
		.amdhsa_user_sgpr_dispatch_ptr 0
		.amdhsa_user_sgpr_queue_ptr 0
		.amdhsa_user_sgpr_kernarg_segment_ptr 1
		.amdhsa_user_sgpr_dispatch_id 0
		.amdhsa_user_sgpr_private_segment_size 0
		.amdhsa_wavefront_size32 1
		.amdhsa_uses_dynamic_stack 0
		.amdhsa_enable_private_segment 0
		.amdhsa_system_sgpr_workgroup_id_x 1
		.amdhsa_system_sgpr_workgroup_id_y 0
		.amdhsa_system_sgpr_workgroup_id_z 0
		.amdhsa_system_sgpr_workgroup_info 0
		.amdhsa_system_vgpr_workitem_id 0
		.amdhsa_next_free_vgpr 109
		.amdhsa_next_free_sgpr 16
		.amdhsa_reserve_vcc 1
		.amdhsa_float_round_mode_32 0
		.amdhsa_float_round_mode_16_64 0
		.amdhsa_float_denorm_mode_32 3
		.amdhsa_float_denorm_mode_16_64 3
		.amdhsa_dx10_clamp 1
		.amdhsa_ieee_mode 1
		.amdhsa_fp16_overflow 0
		.amdhsa_workgroup_processor_mode 1
		.amdhsa_memory_ordered 1
		.amdhsa_forward_progress 0
		.amdhsa_shared_vgpr_count 0
		.amdhsa_exception_fp_ieee_invalid_op 0
		.amdhsa_exception_fp_denorm_src 0
		.amdhsa_exception_fp_ieee_div_zero 0
		.amdhsa_exception_fp_ieee_overflow 0
		.amdhsa_exception_fp_ieee_underflow 0
		.amdhsa_exception_fp_ieee_inexact 0
		.amdhsa_exception_int_div_zero 0
	.end_amdhsa_kernel
	.section	.text._Z23fp32_router_gemm_kernelI14__hip_bfloat16Li128ELi11ELi256ELi3072EEvPfPKT_PKf,"axG",@progbits,_Z23fp32_router_gemm_kernelI14__hip_bfloat16Li128ELi11ELi256ELi3072EEvPfPKT_PKf,comdat
.Lfunc_end42:
	.size	_Z23fp32_router_gemm_kernelI14__hip_bfloat16Li128ELi11ELi256ELi3072EEvPfPKT_PKf, .Lfunc_end42-_Z23fp32_router_gemm_kernelI14__hip_bfloat16Li128ELi11ELi256ELi3072EEvPfPKT_PKf
                                        ; -- End function
	.section	.AMDGPU.csdata,"",@progbits
; Kernel info:
; codeLenInByte = 3144
; NumSgprs: 18
; NumVgprs: 109
; ScratchSize: 0
; MemoryBound: 0
; FloatMode: 240
; IeeeMode: 1
; LDSByteSize: 176 bytes/workgroup (compile time only)
; SGPRBlocks: 2
; VGPRBlocks: 13
; NumSGPRsForWavesPerEU: 18
; NumVGPRsForWavesPerEU: 109
; Occupancy: 12
; WaveLimiterHint : 1
; COMPUTE_PGM_RSRC2:SCRATCH_EN: 0
; COMPUTE_PGM_RSRC2:USER_SGPR: 15
; COMPUTE_PGM_RSRC2:TRAP_HANDLER: 0
; COMPUTE_PGM_RSRC2:TGID_X_EN: 1
; COMPUTE_PGM_RSRC2:TGID_Y_EN: 0
; COMPUTE_PGM_RSRC2:TGID_Z_EN: 0
; COMPUTE_PGM_RSRC2:TIDIG_COMP_CNT: 0
	.section	.text._Z23fp32_router_gemm_kernelI14__hip_bfloat16Li128ELi12ELi256ELi3072EEvPfPKT_PKf,"axG",@progbits,_Z23fp32_router_gemm_kernelI14__hip_bfloat16Li128ELi12ELi256ELi3072EEvPfPKT_PKf,comdat
	.protected	_Z23fp32_router_gemm_kernelI14__hip_bfloat16Li128ELi12ELi256ELi3072EEvPfPKT_PKf ; -- Begin function _Z23fp32_router_gemm_kernelI14__hip_bfloat16Li128ELi12ELi256ELi3072EEvPfPKT_PKf
	.globl	_Z23fp32_router_gemm_kernelI14__hip_bfloat16Li128ELi12ELi256ELi3072EEvPfPKT_PKf
	.p2align	8
	.type	_Z23fp32_router_gemm_kernelI14__hip_bfloat16Li128ELi12ELi256ELi3072EEvPfPKT_PKf,@function
_Z23fp32_router_gemm_kernelI14__hip_bfloat16Li128ELi12ELi256ELi3072EEvPfPKT_PKf: ; @_Z23fp32_router_gemm_kernelI14__hip_bfloat16Li128ELi12ELi256ELi3072EEvPfPKT_PKf
; %bb.0:
	s_clause 0x1
	s_load_b64 s[6:7], s[0:1], 0x10
	s_load_b128 s[0:3], s[0:1], 0x0
	v_dual_mov_b32 v12, 0 :: v_dual_lshlrev_b32 v13, 3, v0
	s_mul_i32 s8, s15, 0xc00
	v_dual_mov_b32 v11, 0 :: v_dual_mov_b32 v10, 0
	s_ashr_i32 s9, s8, 31
	s_delay_alu instid0(VALU_DEP_2)
	v_or_b32_e32 v14, 0x400, v13
	s_lshl_b64 s[8:9], s[8:9], 2
	v_or_b32_e32 v15, 0x800, v13
	v_dual_mov_b32 v9, 0 :: v_dual_mov_b32 v8, 0
	v_dual_mov_b32 v7, 0 :: v_dual_mov_b32 v6, 0
	;; [unrolled: 1-line block ×4, first 2 shown]
	v_mov_b32_e32 v1, 0
	s_waitcnt lgkmcnt(0)
	s_add_u32 s6, s6, s8
	s_mov_b32 s4, s15
	s_addc_u32 s7, s7, s9
	s_mov_b64 s[8:9], 0
.LBB43_1:                               ; =>This Inner Loop Header: Depth=1
	s_delay_alu instid0(SALU_CYCLE_1)
	s_cmp_eq_u32 s8, 1
	s_cselect_b32 vcc_lo, -1, 0
	s_cmp_eq_u32 s8, 2
	v_cndmask_b32_e32 v16, v13, v14, vcc_lo
	s_cselect_b32 vcc_lo, -1, 0
	s_add_u32 s8, s8, 1
	s_addc_u32 s9, s9, 0
	s_cmp_eq_u32 s8, 3
	v_cndmask_b32_e32 v16, v16, v15, vcc_lo
	s_delay_alu instid0(VALU_DEP_1) | instskip(SKIP_1) | instid1(VALU_DEP_2)
	v_lshlrev_b32_e32 v17, 1, v16
	v_lshlrev_b32_e32 v64, 2, v16
	v_add_co_u32 v22, s5, s2, v17
	s_delay_alu instid0(VALU_DEP_1)
	v_add_co_ci_u32_e64 v23, null, s3, 0, s5
	global_load_b128 v[16:19], v17, s[2:3]
	v_add_co_u32 v20, vcc_lo, 0x1000, v22
	v_add_co_ci_u32_e32 v21, vcc_lo, 0, v23, vcc_lo
	v_add_co_u32 v24, vcc_lo, 0x3000, v22
	v_add_co_ci_u32_e32 v25, vcc_lo, 0, v23, vcc_lo
	;; [unrolled: 2-line block ×11, first 2 shown]
	s_clause 0xa
	global_load_b128 v[20:23], v[20:21], off offset:2048
	global_load_b128 v[24:27], v[24:25], off
	global_load_b128 v[28:31], v[28:29], off offset:2048
	global_load_b128 v[32:35], v[32:33], off
	;; [unrolled: 2-line block ×5, first 2 shown]
	global_load_b128 v[60:63], v[60:61], off offset:2048
	s_waitcnt vmcnt(11)
	v_lshlrev_b32_e32 v67, 16, v17
	v_lshlrev_b32_e32 v69, 16, v18
	s_waitcnt vmcnt(10)
	v_lshlrev_b32_e32 v73, 16, v20
	s_waitcnt vmcnt(8)
	v_lshlrev_b32_e32 v85, 16, v28
	v_and_b32_e32 v66, 0xffff0000, v16
	v_lshlrev_b32_e32 v65, 16, v16
	s_waitcnt vmcnt(7)
	v_lshlrev_b32_e32 v89, 16, v32
	v_lshlrev_b32_e32 v77, 16, v22
	s_waitcnt vmcnt(6)
	v_lshlrev_b32_e32 v94, 16, v37
	v_lshlrev_b32_e32 v86, 16, v29
	v_and_b32_e32 v28, 0xffff0000, v28
	v_and_b32_e32 v76, 0xffff0000, v21
	s_waitcnt vmcnt(5)
	v_lshlrev_b32_e32 v98, 16, v41
	s_waitcnt vmcnt(4)
	v_lshlrev_b32_e32 v101, 16, v44
	v_and_b32_e32 v72, 0xffff0000, v19
	s_waitcnt vmcnt(3)
	v_lshlrev_b32_e32 v106, 16, v49
	v_lshlrev_b32_e32 v93, 16, v36
	v_and_b32_e32 v70, 0xffff0000, v18
	v_lshlrev_b32_e32 v107, 16, v50
	v_lshlrev_b32_e32 v105, 16, v48
	;; [unrolled: 1-line block ×4, first 2 shown]
	v_and_b32_e32 v41, 0xffff0000, v41
	v_lshlrev_b32_e32 v97, 16, v40
	v_lshlrev_b32_e32 v79, 16, v23
	s_waitcnt vmcnt(2)
	v_lshlrev_b32_e32 v109, 16, v52
	v_and_b32_e32 v74, 0xffff0000, v20
	v_and_b32_e32 v68, 0xffff0000, v17
	v_lshlrev_b32_e32 v75, 16, v21
	s_waitcnt vmcnt(0)
	v_lshlrev_b32_e32 v117, 16, v60
	v_and_b32_e32 v78, 0xffff0000, v22
	v_lshlrev_b32_e32 v119, 16, v62
	v_lshlrev_b32_e32 v102, 16, v45
	v_and_b32_e32 v45, 0xffff0000, v45
	v_and_b32_e32 v36, 0xffff0000, v36
	;; [unrolled: 1-line block ×3, first 2 shown]
	s_clause 0x1
	global_load_b128 v[16:19], v64, s[6:7]
	global_load_b128 v[20:23], v64, s[6:7] offset:16
	v_and_b32_e32 v60, 0xffff0000, v60
	v_lshlrev_b32_e32 v118, 16, v61
	v_and_b32_e32 v61, 0xffff0000, v61
	v_lshlrev_b32_e32 v111, 16, v54
	v_and_b32_e32 v44, 0xffff0000, v44
	v_and_b32_e32 v62, 0xffff0000, v62
	v_lshlrev_b32_e32 v115, 16, v58
	v_and_b32_e32 v58, 0xffff0000, v58
	v_lshlrev_b32_e32 v113, 16, v56
	v_lshlrev_b32_e32 v83, 16, v26
	;; [unrolled: 1-line block ×4, first 2 shown]
	s_waitcnt vmcnt(1)
	v_dual_fmac_f32 v2, v16, v113 :: v_dual_and_b32 v63, 0xffff0000, v63
	v_fmac_f32_e32 v12, v16, v65
	v_dual_fmac_f32 v1, v16, v117 :: v_dual_lshlrev_b32 v84, 16, v27
	v_fmac_f32_e32 v9, v16, v85
	v_fmac_f32_e32 v4, v16, v105
	s_delay_alu instid0(VALU_DEP_4) | instskip(NEXT) | instid1(VALU_DEP_4)
	v_fmac_f32_e32 v12, v17, v66
	v_dual_fmac_f32 v1, v17, v60 :: v_dual_lshlrev_b32 v90, 16, v33
	v_fmac_f32_e32 v10, v16, v81
	s_delay_alu instid0(VALU_DEP_3) | instskip(NEXT) | instid1(VALU_DEP_3)
	v_dual_fmac_f32 v3, v16, v109 :: v_dual_fmac_f32 v12, v18, v67
	v_fmac_f32_e32 v1, v18, v118
	v_dual_fmac_f32 v11, v16, v73 :: v_dual_lshlrev_b32 v96, 16, v39
	v_fmac_f32_e32 v5, v16, v101
	v_lshlrev_b32_e32 v82, 16, v25
	s_delay_alu instid0(VALU_DEP_4) | instskip(NEXT) | instid1(VALU_DEP_4)
	v_fmac_f32_e32 v1, v19, v61
	v_dual_fmac_f32 v11, v17, v74 :: v_dual_fmac_f32 v12, v19, v68
	s_delay_alu instid0(VALU_DEP_4) | instskip(SKIP_1) | instid1(VALU_DEP_3)
	v_fmac_f32_e32 v5, v17, v44
	s_waitcnt vmcnt(0)
	v_dual_fmac_f32 v1, v20, v119 :: v_dual_and_b32 v24, 0xffff0000, v24
	s_delay_alu instid0(VALU_DEP_3) | instskip(SKIP_2) | instid1(VALU_DEP_4)
	v_fmac_f32_e32 v11, v18, v75
	v_and_b32_e32 v25, 0xffff0000, v25
	v_and_b32_e32 v52, 0xffff0000, v52
	v_fmac_f32_e32 v10, v17, v24
	v_fmac_f32_e32 v1, v21, v62
	v_and_b32_e32 v26, 0xffff0000, v26
	s_delay_alu instid0(VALU_DEP_4)
	v_dual_fmac_f32 v3, v17, v52 :: v_dual_lshlrev_b32 v110, 16, v53
	v_and_b32_e32 v32, 0xffff0000, v32
	v_fmac_f32_e32 v10, v18, v82
	v_fmac_f32_e32 v8, v16, v89
	v_and_b32_e32 v53, 0xffff0000, v53
	v_fmac_f32_e32 v3, v18, v110
	v_and_b32_e32 v27, 0xffff0000, v27
	v_dual_fmac_f32 v5, v18, v102 :: v_dual_lshlrev_b32 v88, 16, v31
	v_dual_fmac_f32 v8, v17, v32 :: v_dual_and_b32 v33, 0xffff0000, v33
	s_delay_alu instid0(VALU_DEP_4) | instskip(SKIP_1) | instid1(VALU_DEP_3)
	v_fmac_f32_e32 v3, v19, v53
	v_dual_fmac_f32 v10, v19, v25 :: v_dual_lshlrev_b32 v91, 16, v34
	v_fmac_f32_e32 v8, v18, v90
	v_lshlrev_b32_e32 v95, 16, v38
	v_and_b32_e32 v38, 0xffff0000, v38
	v_and_b32_e32 v48, 0xffff0000, v48
	s_delay_alu instid0(VALU_DEP_4) | instskip(SKIP_2) | instid1(VALU_DEP_4)
	v_dual_fmac_f32 v8, v19, v33 :: v_dual_lshlrev_b32 v87, 16, v30
	v_dual_fmac_f32 v9, v17, v28 :: v_dual_and_b32 v30, 0xffff0000, v30
	v_fmac_f32_e32 v11, v19, v76
	v_fmac_f32_e32 v4, v17, v48
	s_delay_alu instid0(VALU_DEP_4) | instskip(NEXT) | instid1(VALU_DEP_3)
	v_dual_fmac_f32 v8, v20, v91 :: v_dual_fmac_f32 v5, v19, v45
	v_dual_fmac_f32 v11, v20, v77 :: v_dual_and_b32 v40, 0xffff0000, v40
	s_delay_alu instid0(VALU_DEP_3) | instskip(SKIP_3) | instid1(VALU_DEP_4)
	v_dual_fmac_f32 v4, v18, v106 :: v_dual_fmac_f32 v7, v16, v93
	v_fmac_f32_e32 v6, v16, v97
	v_and_b32_e32 v29, 0xffff0000, v29
	v_dual_fmac_f32 v1, v22, v120 :: v_dual_lshlrev_b32 v112, 16, v55
	v_fmac_f32_e32 v7, v17, v36
	s_delay_alu instid0(VALU_DEP_4) | instskip(SKIP_2) | instid1(VALU_DEP_4)
	v_fmac_f32_e32 v6, v17, v40
	v_lshlrev_b32_e32 v114, 16, v57
	v_dual_fmac_f32 v11, v21, v78 :: v_dual_lshlrev_b32 v100, 16, v43
	v_fmac_f32_e32 v7, v18, v94
	v_fmac_f32_e32 v9, v18, v86
	v_and_b32_e32 v34, 0xffff0000, v34
	v_and_b32_e32 v57, 0xffff0000, v57
	v_dual_fmac_f32 v12, v20, v69 :: v_dual_and_b32 v39, 0xffff0000, v39
	s_delay_alu instid0(VALU_DEP_4) | instskip(NEXT) | instid1(VALU_DEP_4)
	v_dual_fmac_f32 v9, v19, v29 :: v_dual_fmac_f32 v10, v20, v83
	v_fmac_f32_e32 v8, v21, v34
	s_delay_alu instid0(VALU_DEP_3) | instskip(NEXT) | instid1(VALU_DEP_3)
	v_dual_fmac_f32 v12, v21, v70 :: v_dual_fmac_f32 v11, v22, v79
	v_fmac_f32_e32 v9, v20, v87
	v_lshlrev_b32_e32 v104, 16, v47
	v_fmac_f32_e32 v10, v21, v26
	s_delay_alu instid0(VALU_DEP_4) | instskip(NEXT) | instid1(VALU_DEP_4)
	v_dual_fmac_f32 v12, v22, v71 :: v_dual_fmac_f32 v11, v23, v80
	v_fmac_f32_e32 v9, v21, v30
	v_and_b32_e32 v50, 0xffff0000, v50
	s_delay_alu instid0(VALU_DEP_4) | instskip(NEXT) | instid1(VALU_DEP_4)
	v_dual_fmac_f32 v10, v22, v84 :: v_dual_and_b32 v47, 0xffff0000, v47
	v_fmac_f32_e32 v12, v23, v72
	s_delay_alu instid0(VALU_DEP_4) | instskip(SKIP_3) | instid1(VALU_DEP_3)
	v_fmac_f32_e32 v9, v22, v88
	v_and_b32_e32 v56, 0xffff0000, v56
	v_and_b32_e32 v31, 0xffff0000, v31
	v_fmac_f32_e32 v10, v23, v27
	v_dual_fmac_f32 v1, v23, v63 :: v_dual_fmac_f32 v2, v17, v56
	v_and_b32_e32 v37, 0xffff0000, v37
	s_delay_alu instid0(VALU_DEP_2) | instskip(NEXT) | instid1(VALU_DEP_2)
	v_dual_fmac_f32 v9, v23, v31 :: v_dual_fmac_f32 v2, v18, v114
	v_dual_fmac_f32 v7, v19, v37 :: v_dual_lshlrev_b32 v92, 16, v35
	s_delay_alu instid0(VALU_DEP_2) | instskip(SKIP_1) | instid1(VALU_DEP_3)
	v_dual_fmac_f32 v2, v19, v57 :: v_dual_and_b32 v43, 0xffff0000, v43
	v_and_b32_e32 v49, 0xffff0000, v49
	v_fmac_f32_e32 v7, v20, v95
	v_dual_fmac_f32 v6, v18, v98 :: v_dual_and_b32 v35, 0xffff0000, v35
	s_delay_alu instid0(VALU_DEP_4) | instskip(NEXT) | instid1(VALU_DEP_4)
	v_dual_fmac_f32 v2, v20, v115 :: v_dual_lshlrev_b32 v99, 16, v42
	v_fmac_f32_e32 v4, v19, v49
	v_fmac_f32_e32 v8, v22, v92
	s_delay_alu instid0(VALU_DEP_4) | instskip(SKIP_1) | instid1(VALU_DEP_4)
	v_dual_fmac_f32 v6, v19, v41 :: v_dual_lshlrev_b32 v103, 16, v46
	v_dual_fmac_f32 v3, v20, v111 :: v_dual_and_b32 v46, 0xffff0000, v46
	v_fmac_f32_e32 v4, v20, v107
	s_delay_alu instid0(VALU_DEP_3) | instskip(NEXT) | instid1(VALU_DEP_4)
	v_fmac_f32_e32 v6, v20, v99
	v_dual_fmac_f32 v5, v20, v103 :: v_dual_and_b32 v42, 0xffff0000, v42
	s_delay_alu instid0(VALU_DEP_3) | instskip(SKIP_1) | instid1(VALU_DEP_3)
	v_dual_fmac_f32 v4, v21, v50 :: v_dual_and_b32 v55, 0xffff0000, v55
	v_fmac_f32_e32 v7, v21, v38
	v_fmac_f32_e32 v6, v21, v42
	s_delay_alu instid0(VALU_DEP_4) | instskip(SKIP_3) | instid1(VALU_DEP_4)
	v_fmac_f32_e32 v5, v21, v46
	v_and_b32_e32 v54, 0xffff0000, v54
	v_dual_fmac_f32 v2, v21, v58 :: v_dual_and_b32 v59, 0xffff0000, v59
	v_fmac_f32_e32 v7, v22, v96
	v_dual_fmac_f32 v5, v22, v104 :: v_dual_lshlrev_b32 v108, 16, v51
	s_delay_alu instid0(VALU_DEP_4) | instskip(SKIP_2) | instid1(VALU_DEP_4)
	v_fmac_f32_e32 v3, v21, v54
	v_dual_fmac_f32 v6, v22, v100 :: v_dual_and_b32 v51, 0xffff0000, v51
	v_fmac_f32_e32 v2, v22, v116
	v_fmac_f32_e32 v4, v22, v108
	s_delay_alu instid0(VALU_DEP_4)
	v_dual_fmac_f32 v3, v22, v112 :: v_dual_fmac_f32 v8, v23, v35
	v_fmac_f32_e32 v7, v23, v39
	v_fmac_f32_e32 v6, v23, v43
	;; [unrolled: 1-line block ×6, first 2 shown]
	s_cbranch_scc0 .LBB43_1
; %bb.2:
	v_mbcnt_lo_u32_b32 v16, -1, 0
	v_lshrrev_b32_e32 v20, 5, v0
	s_delay_alu instid0(VALU_DEP_2) | instskip(SKIP_1) | instid1(VALU_DEP_2)
	v_xor_b32_e32 v13, 16, v16
	v_xor_b32_e32 v14, 8, v16
	v_cmp_gt_i32_e32 vcc_lo, 32, v13
	v_cndmask_b32_e32 v13, v16, v13, vcc_lo
	s_delay_alu instid0(VALU_DEP_3) | instskip(SKIP_1) | instid1(VALU_DEP_1)
	v_cmp_gt_i32_e32 vcc_lo, 32, v14
	v_cndmask_b32_e32 v14, v16, v14, vcc_lo
	v_lshlrev_b32_e32 v14, 2, v14
	s_delay_alu instid0(VALU_DEP_4) | instskip(SKIP_4) | instid1(VALU_DEP_1)
	v_lshlrev_b32_e32 v13, 2, v13
	ds_bpermute_b32 v15, v13, v12
	s_waitcnt lgkmcnt(0)
	v_add_f32_e32 v15, v12, v15
	v_xor_b32_e32 v12, 4, v16
	v_cmp_gt_i32_e32 vcc_lo, 32, v12
	v_cndmask_b32_e32 v12, v16, v12, vcc_lo
	s_delay_alu instid0(VALU_DEP_1)
	v_lshlrev_b32_e32 v12, 2, v12
	ds_bpermute_b32 v17, v14, v15
	s_waitcnt lgkmcnt(0)
	v_add_f32_e32 v17, v15, v17
	v_xor_b32_e32 v15, 2, v16
	ds_bpermute_b32 v18, v12, v17
	v_cmp_gt_i32_e32 vcc_lo, 32, v15
	s_waitcnt lgkmcnt(0)
	v_dual_cndmask_b32 v15, v16, v15 :: v_dual_add_f32 v18, v17, v18
	v_xor_b32_e32 v17, 1, v16
	s_delay_alu instid0(VALU_DEP_1) | instskip(NEXT) | instid1(VALU_DEP_3)
	v_cmp_gt_i32_e32 vcc_lo, 32, v17
	v_dual_cndmask_b32 v16, v16, v17 :: v_dual_lshlrev_b32 v15, 2, v15
	ds_bpermute_b32 v19, v15, v18
	v_lshlrev_b32_e32 v17, 2, v16
	v_and_b32_e32 v16, 31, v0
	s_delay_alu instid0(VALU_DEP_1)
	v_cmp_eq_u32_e32 vcc_lo, 0, v16
	v_lshlrev_b32_e32 v16, 2, v20
	s_waitcnt lgkmcnt(0)
	v_add_f32_e32 v18, v18, v19
	ds_bpermute_b32 v19, v17, v18
	s_and_saveexec_b32 s2, vcc_lo
	s_cbranch_execz .LBB43_4
; %bb.3:
	s_waitcnt lgkmcnt(0)
	v_add_f32_e32 v18, v18, v19
	ds_store_b32 v16, v18
.LBB43_4:
	s_or_b32 exec_lo, exec_lo, s2
	ds_bpermute_b32 v18, v13, v11
	s_waitcnt lgkmcnt(0)
	v_add_f32_e32 v11, v11, v18
	ds_bpermute_b32 v18, v14, v11
	s_waitcnt lgkmcnt(0)
	v_add_f32_e32 v11, v11, v18
	ds_bpermute_b32 v18, v12, v11
	s_waitcnt lgkmcnt(0)
	v_add_f32_e32 v11, v11, v18
	ds_bpermute_b32 v18, v15, v11
	s_waitcnt lgkmcnt(0)
	v_add_f32_e32 v11, v11, v18
	ds_bpermute_b32 v18, v17, v11
	s_and_saveexec_b32 s2, vcc_lo
	s_cbranch_execz .LBB43_6
; %bb.5:
	s_waitcnt lgkmcnt(0)
	v_add_f32_e32 v11, v11, v18
	ds_store_b32 v16, v11 offset:16
.LBB43_6:
	s_or_b32 exec_lo, exec_lo, s2
	ds_bpermute_b32 v11, v13, v10
	s_waitcnt lgkmcnt(0)
	v_add_f32_e32 v10, v10, v11
	ds_bpermute_b32 v11, v14, v10
	s_waitcnt lgkmcnt(0)
	v_add_f32_e32 v10, v10, v11
	ds_bpermute_b32 v11, v12, v10
	s_waitcnt lgkmcnt(0)
	v_add_f32_e32 v10, v10, v11
	ds_bpermute_b32 v11, v15, v10
	s_waitcnt lgkmcnt(0)
	v_add_f32_e32 v10, v10, v11
	ds_bpermute_b32 v11, v17, v10
	s_and_saveexec_b32 s2, vcc_lo
	s_cbranch_execz .LBB43_8
; %bb.7:
	s_waitcnt lgkmcnt(0)
	v_add_f32_e32 v10, v10, v11
	ds_store_b32 v16, v10 offset:32
.LBB43_8:
	;; [unrolled: 21-line block ×11, first 2 shown]
	s_or_b32 exec_lo, exec_lo, s2
	s_waitcnt lgkmcnt(0)
	s_barrier
	buffer_gl0_inv
	s_mov_b32 s2, exec_lo
	v_cmpx_eq_u32_e32 0, v0
	s_cbranch_execz .LBB43_28
; %bb.27:
	v_mov_b32_e32 v48, 0
	s_ashr_i32 s5, s4, 31
	ds_load_b128 v[0:3], v48
	ds_load_b128 v[4:7], v48 offset:16
	ds_load_b128 v[8:11], v48 offset:32
	;; [unrolled: 1-line block ×6, first 2 shown]
	s_lshl_b64 s[2:3], s[4:5], 2
	s_delay_alu instid0(SALU_CYCLE_1)
	s_add_u32 s0, s0, s2
	s_addc_u32 s1, s1, s3
	s_waitcnt lgkmcnt(3)
	v_add_f32_e32 v12, 0, v12
	v_add_f32_e32 v0, 0, v0
	s_waitcnt lgkmcnt(1)
	v_add_f32_e32 v20, 0, v20
	v_add_f32_e32 v4, 0, v4
	s_delay_alu instid0(VALU_DEP_3) | instskip(NEXT) | instid1(VALU_DEP_2)
	v_add_f32_e32 v0, v0, v1
	v_add_f32_e32 v1, v4, v5
	ds_load_b128 v[28:31], v48 offset:112
	ds_load_b128 v[32:35], v48 offset:128
	;; [unrolled: 1-line block ×5, first 2 shown]
	v_dual_add_f32 v8, 0, v8 :: v_dual_add_f32 v5, v12, v13
	v_mov_b32_e32 v13, 0x2000
	v_dual_add_f32 v1, v1, v6 :: v_dual_add_f32 v16, 0, v16
	s_delay_alu instid0(VALU_DEP_1) | instskip(SKIP_1) | instid1(VALU_DEP_2)
	v_dual_add_f32 v4, v8, v9 :: v_dual_add_f32 v1, v1, v7
	s_waitcnt lgkmcnt(4)
	v_dual_add_f32 v8, v16, v17 :: v_dual_add_f32 v7, 0, v28
	v_add_f32_e32 v0, v0, v2
	s_delay_alu instid0(VALU_DEP_3) | instskip(SKIP_4) | instid1(VALU_DEP_3)
	v_add_f32_e32 v2, v4, v10
	v_add_f32_e32 v4, v5, v14
	s_waitcnt lgkmcnt(2)
	v_dual_add_f32 v10, 0, v36 :: v_dual_add_f32 v7, v7, v29
	v_add_f32_e32 v0, v0, v3
	v_add_f32_e32 v3, v4, v15
	;; [unrolled: 1-line block ×3, first 2 shown]
	s_delay_alu instid0(VALU_DEP_4) | instskip(NEXT) | instid1(VALU_DEP_1)
	v_dual_add_f32 v7, v7, v30 :: v_dual_add_f32 v10, v10, v37
	v_dual_add_f32 v6, v9, v22 :: v_dual_add_f32 v7, v7, v31
	s_delay_alu instid0(VALU_DEP_2) | instskip(NEXT) | instid1(VALU_DEP_1)
	v_dual_add_f32 v9, 0, v32 :: v_dual_add_f32 v10, v10, v38
	v_dual_add_f32 v6, v6, v23 :: v_dual_add_f32 v9, v9, v33
	s_waitcnt lgkmcnt(1)
	v_dual_add_f32 v2, v2, v11 :: v_dual_add_f32 v11, 0, v40
	v_dual_add_f32 v5, v8, v18 :: v_dual_add_f32 v24, 0, v24
	s_delay_alu instid0(VALU_DEP_3) | instskip(NEXT) | instid1(VALU_DEP_3)
	v_dual_add_f32 v9, v9, v34 :: v_dual_add_f32 v10, v10, v39
	v_add_f32_e32 v11, v11, v41
	s_delay_alu instid0(VALU_DEP_3) | instskip(NEXT) | instid1(VALU_DEP_3)
	v_dual_add_f32 v5, v5, v19 :: v_dual_add_f32 v12, v24, v25
	v_add_f32_e32 v9, v9, v35
	s_delay_alu instid0(VALU_DEP_3) | instskip(NEXT) | instid1(VALU_DEP_3)
	v_dual_add_f32 v11, v11, v42 :: v_dual_mov_b32 v8, 0x1000
	v_add_f32_e32 v4, v12, v26
	s_waitcnt lgkmcnt(0)
	s_delay_alu instid0(VALU_DEP_2) | instskip(NEXT) | instid1(VALU_DEP_2)
	v_dual_add_f32 v12, 0, v44 :: v_dual_add_f32 v11, v11, v43
	v_add_f32_e32 v4, v4, v27
	s_delay_alu instid0(VALU_DEP_2) | instskip(NEXT) | instid1(VALU_DEP_1)
	v_add_f32_e32 v12, v12, v45
	v_add_f32_e32 v12, v12, v46
	s_delay_alu instid0(VALU_DEP_1)
	v_add_f32_e32 v12, v12, v47
	s_clause 0xb
	global_store_b32 v48, v0, s[0:1]
	global_store_b32 v48, v1, s[0:1] offset:1024
	global_store_b32 v48, v2, s[0:1] offset:2048
	global_store_b32 v48, v3, s[0:1] offset:3072
	global_store_b32 v8, v5, s[0:1]
	global_store_b32 v8, v6, s[0:1] offset:1024
	global_store_b32 v8, v4, s[0:1] offset:2048
	global_store_b32 v8, v7, s[0:1] offset:3072
	;; [unrolled: 4-line block ×3, first 2 shown]
.LBB43_28:
	s_nop 0
	s_sendmsg sendmsg(MSG_DEALLOC_VGPRS)
	s_endpgm
	.section	.rodata,"a",@progbits
	.p2align	6, 0x0
	.amdhsa_kernel _Z23fp32_router_gemm_kernelI14__hip_bfloat16Li128ELi12ELi256ELi3072EEvPfPKT_PKf
		.amdhsa_group_segment_fixed_size 192
		.amdhsa_private_segment_fixed_size 0
		.amdhsa_kernarg_size 24
		.amdhsa_user_sgpr_count 15
		.amdhsa_user_sgpr_dispatch_ptr 0
		.amdhsa_user_sgpr_queue_ptr 0
		.amdhsa_user_sgpr_kernarg_segment_ptr 1
		.amdhsa_user_sgpr_dispatch_id 0
		.amdhsa_user_sgpr_private_segment_size 0
		.amdhsa_wavefront_size32 1
		.amdhsa_uses_dynamic_stack 0
		.amdhsa_enable_private_segment 0
		.amdhsa_system_sgpr_workgroup_id_x 1
		.amdhsa_system_sgpr_workgroup_id_y 0
		.amdhsa_system_sgpr_workgroup_id_z 0
		.amdhsa_system_sgpr_workgroup_info 0
		.amdhsa_system_vgpr_workitem_id 0
		.amdhsa_next_free_vgpr 121
		.amdhsa_next_free_sgpr 16
		.amdhsa_reserve_vcc 1
		.amdhsa_float_round_mode_32 0
		.amdhsa_float_round_mode_16_64 0
		.amdhsa_float_denorm_mode_32 3
		.amdhsa_float_denorm_mode_16_64 3
		.amdhsa_dx10_clamp 1
		.amdhsa_ieee_mode 1
		.amdhsa_fp16_overflow 0
		.amdhsa_workgroup_processor_mode 1
		.amdhsa_memory_ordered 1
		.amdhsa_forward_progress 0
		.amdhsa_shared_vgpr_count 0
		.amdhsa_exception_fp_ieee_invalid_op 0
		.amdhsa_exception_fp_denorm_src 0
		.amdhsa_exception_fp_ieee_div_zero 0
		.amdhsa_exception_fp_ieee_overflow 0
		.amdhsa_exception_fp_ieee_underflow 0
		.amdhsa_exception_fp_ieee_inexact 0
		.amdhsa_exception_int_div_zero 0
	.end_amdhsa_kernel
	.section	.text._Z23fp32_router_gemm_kernelI14__hip_bfloat16Li128ELi12ELi256ELi3072EEvPfPKT_PKf,"axG",@progbits,_Z23fp32_router_gemm_kernelI14__hip_bfloat16Li128ELi12ELi256ELi3072EEvPfPKT_PKf,comdat
.Lfunc_end43:
	.size	_Z23fp32_router_gemm_kernelI14__hip_bfloat16Li128ELi12ELi256ELi3072EEvPfPKT_PKf, .Lfunc_end43-_Z23fp32_router_gemm_kernelI14__hip_bfloat16Li128ELi12ELi256ELi3072EEvPfPKT_PKf
                                        ; -- End function
	.section	.AMDGPU.csdata,"",@progbits
; Kernel info:
; codeLenInByte = 3472
; NumSgprs: 18
; NumVgprs: 121
; ScratchSize: 0
; MemoryBound: 0
; FloatMode: 240
; IeeeMode: 1
; LDSByteSize: 192 bytes/workgroup (compile time only)
; SGPRBlocks: 2
; VGPRBlocks: 15
; NumSGPRsForWavesPerEU: 18
; NumVGPRsForWavesPerEU: 121
; Occupancy: 10
; WaveLimiterHint : 1
; COMPUTE_PGM_RSRC2:SCRATCH_EN: 0
; COMPUTE_PGM_RSRC2:USER_SGPR: 15
; COMPUTE_PGM_RSRC2:TRAP_HANDLER: 0
; COMPUTE_PGM_RSRC2:TGID_X_EN: 1
; COMPUTE_PGM_RSRC2:TGID_Y_EN: 0
; COMPUTE_PGM_RSRC2:TGID_Z_EN: 0
; COMPUTE_PGM_RSRC2:TIDIG_COMP_CNT: 0
	.section	.text._Z23fp32_router_gemm_kernelI14__hip_bfloat16Li128ELi13ELi256ELi3072EEvPfPKT_PKf,"axG",@progbits,_Z23fp32_router_gemm_kernelI14__hip_bfloat16Li128ELi13ELi256ELi3072EEvPfPKT_PKf,comdat
	.protected	_Z23fp32_router_gemm_kernelI14__hip_bfloat16Li128ELi13ELi256ELi3072EEvPfPKT_PKf ; -- Begin function _Z23fp32_router_gemm_kernelI14__hip_bfloat16Li128ELi13ELi256ELi3072EEvPfPKT_PKf
	.globl	_Z23fp32_router_gemm_kernelI14__hip_bfloat16Li128ELi13ELi256ELi3072EEvPfPKT_PKf
	.p2align	8
	.type	_Z23fp32_router_gemm_kernelI14__hip_bfloat16Li128ELi13ELi256ELi3072EEvPfPKT_PKf,@function
_Z23fp32_router_gemm_kernelI14__hip_bfloat16Li128ELi13ELi256ELi3072EEvPfPKT_PKf: ; @_Z23fp32_router_gemm_kernelI14__hip_bfloat16Li128ELi13ELi256ELi3072EEvPfPKT_PKf
; %bb.0:
	s_clause 0x1
	s_load_b64 s[6:7], s[0:1], 0x10
	s_load_b128 s[0:3], s[0:1], 0x0
	v_dual_mov_b32 v13, 0 :: v_dual_lshlrev_b32 v14, 3, v0
	s_mul_i32 s8, s15, 0xc00
	v_dual_mov_b32 v12, 0 :: v_dual_mov_b32 v11, 0
	s_ashr_i32 s9, s8, 31
	s_delay_alu instid0(VALU_DEP_2)
	v_or_b32_e32 v15, 0x400, v14
	s_lshl_b64 s[8:9], s[8:9], 2
	v_or_b32_e32 v16, 0x800, v14
	v_dual_mov_b32 v10, 0 :: v_dual_mov_b32 v9, 0
	v_dual_mov_b32 v8, 0 :: v_dual_mov_b32 v7, 0
	;; [unrolled: 1-line block ×5, first 2 shown]
	s_waitcnt lgkmcnt(0)
	s_add_u32 s6, s6, s8
	s_mov_b32 s4, s15
	s_addc_u32 s7, s7, s9
	s_mov_b64 s[8:9], 0
.LBB44_1:                               ; =>This Inner Loop Header: Depth=1
	s_delay_alu instid0(SALU_CYCLE_1)
	s_cmp_eq_u32 s8, 1
	s_cselect_b32 vcc_lo, -1, 0
	s_cmp_eq_u32 s8, 2
	v_cndmask_b32_e32 v17, v14, v15, vcc_lo
	s_cselect_b32 vcc_lo, -1, 0
	s_add_u32 s8, s8, 1
	s_addc_u32 s9, s9, 0
	s_cmp_eq_u32 s8, 3
	v_cndmask_b32_e32 v17, v17, v16, vcc_lo
	s_delay_alu instid0(VALU_DEP_1) | instskip(SKIP_2) | instid1(VALU_DEP_1)
	v_lshlrev_b32_e32 v75, 2, v17
	global_load_b128 v[23:26], v75, s[6:7]
	v_lshlrev_b32_e32 v18, 1, v17
	v_add_co_u32 v27, s5, s2, v18
	s_delay_alu instid0(VALU_DEP_1)
	v_add_co_ci_u32_e64 v28, null, s3, 0, s5
	global_load_b128 v[19:22], v18, s[2:3]
	v_add_co_u32 v17, vcc_lo, 0x1000, v27
	v_add_co_ci_u32_e32 v18, vcc_lo, 0, v28, vcc_lo
	v_add_co_u32 v31, vcc_lo, 0x3000, v27
	v_add_co_ci_u32_e32 v32, vcc_lo, 0, v28, vcc_lo
	;; [unrolled: 2-line block ×12, first 2 shown]
	s_clause 0xb
	global_load_b128 v[27:30], v[17:18], off offset:2048
	global_load_b128 v[31:34], v[31:32], off
	global_load_b128 v[35:38], v[35:36], off offset:2048
	global_load_b128 v[39:42], v[39:40], off
	;; [unrolled: 2-line block ×6, first 2 shown]
	global_load_b128 v[75:78], v75, s[6:7] offset:16
	s_waitcnt vmcnt(13)
	v_and_b32_e32 v18, 0xffff0000, v19
	s_waitcnt vmcnt(8)
	v_lshlrev_b32_e32 v96, 16, v43
	v_lshlrev_b32_e32 v17, 16, v19
	s_waitcnt vmcnt(6)
	v_lshlrev_b32_e32 v104, 16, v51
	v_lshlrev_b32_e32 v79, 16, v21
	v_lshlrev_b32_e32 v105, 16, v52
	v_fmac_f32_e32 v8, v23, v96
	s_waitcnt vmcnt(2)
	v_lshlrev_b32_e32 v120, 16, v67
	v_dual_fmac_f32 v13, v23, v17 :: v_dual_lshlrev_b32 v80, 16, v22
	v_lshlrev_b32_e32 v17, 16, v27
	s_delay_alu instid0(VALU_DEP_3)
	v_dual_fmac_f32 v2, v23, v120 :: v_dual_and_b32 v67, 0xffff0000, v67
	v_lshlrev_b32_e32 v87, 16, v34
	v_lshlrev_b32_e32 v121, 16, v68
	;; [unrolled: 1-line block ×3, first 2 shown]
	v_dual_fmac_f32 v6, v23, v104 :: v_dual_and_b32 v51, 0xffff0000, v51
	v_dual_fmac_f32 v2, v24, v67 :: v_dual_lshlrev_b32 v85, 16, v32
	v_and_b32_e32 v68, 0xffff0000, v68
	v_dual_fmac_f32 v12, v23, v17 :: v_dual_lshlrev_b32 v19, 16, v20
	s_delay_alu instid0(VALU_DEP_4)
	v_fmac_f32_e32 v6, v24, v51
	v_lshlrev_b32_e32 v92, 16, v39
	v_dual_fmac_f32 v2, v25, v121 :: v_dual_and_b32 v39, 0xffff0000, v39
	v_lshlrev_b32_e32 v99, 16, v46
	v_lshlrev_b32_e32 v81, 16, v28
	v_dual_fmac_f32 v13, v24, v18 :: v_dual_and_b32 v28, 0xffff0000, v28
	s_delay_alu instid0(VALU_DEP_4)
	v_dual_fmac_f32 v2, v26, v68 :: v_dual_lshlrev_b32 v123, 16, v70
	s_waitcnt vmcnt(1)
	v_lshlrev_b32_e32 v18, 16, v73
	v_and_b32_e32 v73, 0xffff0000, v73
	v_and_b32_e32 v70, 0xffff0000, v70
	s_waitcnt vmcnt(0)
	v_dual_fmac_f32 v2, v75, v122 :: v_dual_and_b32 v69, 0xffff0000, v69
	v_lshlrev_b32_e32 v111, 16, v58
	v_lshlrev_b32_e32 v116, 16, v63
	;; [unrolled: 1-line block ×3, first 2 shown]
	v_dual_fmac_f32 v6, v25, v105 :: v_dual_lshlrev_b32 v89, 16, v36
	v_dual_fmac_f32 v2, v76, v69 :: v_dual_lshlrev_b32 v115, 16, v62
	s_delay_alu instid0(VALU_DEP_4) | instskip(SKIP_2) | instid1(VALU_DEP_4)
	v_fmac_f32_e32 v3, v23, v116
	v_and_b32_e32 v52, 0xffff0000, v52
	v_and_b32_e32 v20, 0xffff0000, v20
	v_dual_fmac_f32 v2, v77, v123 :: v_dual_lshlrev_b32 v117, 16, v64
	v_lshlrev_b32_e32 v100, 16, v47
	s_delay_alu instid0(VALU_DEP_4) | instskip(SKIP_1) | instid1(VALU_DEP_3)
	v_dual_fmac_f32 v6, v26, v52 :: v_dual_and_b32 v43, 0xffff0000, v43
	v_lshlrev_b32_e32 v83, 16, v30
	v_dual_fmac_f32 v7, v23, v100 :: v_dual_and_b32 v30, 0xffff0000, v30
	v_and_b32_e32 v47, 0xffff0000, v47
	v_fmac_f32_e32 v13, v25, v19
	v_lshlrev_b32_e32 v88, 16, v35
	v_lshlrev_b32_e32 v90, 16, v37
	;; [unrolled: 1-line block ×3, first 2 shown]
	v_fmac_f32_e32 v7, v24, v47
	v_lshlrev_b32_e32 v97, 16, v44
	v_and_b32_e32 v72, 0xffff0000, v72
	v_lshlrev_b32_e32 v108, 16, v55
	v_dual_fmac_f32 v13, v26, v20 :: v_dual_lshlrev_b32 v84, 16, v31
	v_fmac_f32_e32 v10, v23, v88
	s_delay_alu instid0(VALU_DEP_3) | instskip(SKIP_1) | instid1(VALU_DEP_4)
	v_dual_fmac_f32 v8, v24, v43 :: v_dual_fmac_f32 v5, v23, v108
	v_and_b32_e32 v35, 0xffff0000, v35
	v_dual_fmac_f32 v11, v23, v84 :: v_dual_and_b32 v22, 0xffff0000, v22
	v_and_b32_e32 v27, 0xffff0000, v27
	v_lshlrev_b32_e32 v82, 16, v29
	v_fmac_f32_e32 v8, v25, v97
	v_dual_fmac_f32 v10, v24, v35 :: v_dual_and_b32 v29, 0xffff0000, v29
	v_and_b32_e32 v31, 0xffff0000, v31
	v_fmac_f32_e32 v12, v24, v27
	v_and_b32_e32 v63, 0xffff0000, v63
	s_delay_alu instid0(VALU_DEP_4) | instskip(NEXT) | instid1(VALU_DEP_4)
	v_dual_fmac_f32 v10, v25, v89 :: v_dual_lshlrev_b32 v113, 16, v60
	v_dual_fmac_f32 v11, v24, v31 :: v_dual_and_b32 v32, 0xffff0000, v32
	s_delay_alu instid0(VALU_DEP_4) | instskip(SKIP_2) | instid1(VALU_DEP_4)
	v_fmac_f32_e32 v12, v25, v81
	v_and_b32_e32 v37, 0xffff0000, v37
	v_dual_fmac_f32 v3, v24, v63 :: v_dual_and_b32 v60, 0xffff0000, v60
	v_fmac_f32_e32 v11, v25, v85
	v_fmac_f32_e32 v9, v23, v92
	v_and_b32_e32 v36, 0xffff0000, v36
	v_fmac_f32_e32 v12, v26, v28
	v_lshlrev_b32_e32 v93, 16, v40
	s_delay_alu instid0(VALU_DEP_4) | instskip(SKIP_1) | instid1(VALU_DEP_4)
	v_dual_fmac_f32 v9, v24, v39 :: v_dual_and_b32 v40, 0xffff0000, v40
	v_dual_fmac_f32 v11, v26, v32 :: v_dual_lshlrev_b32 v98, 16, v45
	v_dual_fmac_f32 v12, v75, v82 :: v_dual_and_b32 v55, 0xffff0000, v55
	s_delay_alu instid0(VALU_DEP_3) | instskip(NEXT) | instid1(VALU_DEP_3)
	v_fmac_f32_e32 v9, v25, v93
	v_dual_fmac_f32 v11, v75, v86 :: v_dual_lshlrev_b32 v102, 16, v49
	v_lshlrev_b32_e32 v119, 16, v66
	s_delay_alu instid0(VALU_DEP_3)
	v_dual_fmac_f32 v9, v26, v40 :: v_dual_lshlrev_b32 v126, 16, v74
	v_lshlrev_b32_e32 v112, 16, v59
	v_and_b32_e32 v21, 0xffff0000, v21
	v_and_b32_e32 v59, 0xffff0000, v59
	v_lshlrev_b32_e32 v124, 16, v71
	v_and_b32_e32 v34, 0xffff0000, v34
	v_dual_fmac_f32 v4, v23, v112 :: v_dual_and_b32 v33, 0xffff0000, v33
	v_and_b32_e32 v71, 0xffff0000, v71
	s_delay_alu instid0(VALU_DEP_4) | instskip(SKIP_1) | instid1(VALU_DEP_4)
	v_fmac_f32_e32 v1, v23, v124
	v_fmac_f32_e32 v5, v24, v55
	v_dual_fmac_f32 v4, v24, v59 :: v_dual_lshlrev_b32 v91, 16, v38
	v_dual_fmac_f32 v11, v76, v33 :: v_dual_and_b32 v58, 0xffff0000, v58
	v_lshlrev_b32_e32 v118, 16, v65
	s_delay_alu instid0(VALU_DEP_3) | instskip(SKIP_1) | instid1(VALU_DEP_4)
	v_fmac_f32_e32 v4, v25, v113
	v_and_b32_e32 v45, 0xffff0000, v45
	v_dual_fmac_f32 v11, v77, v87 :: v_dual_and_b32 v38, 0xffff0000, v38
	v_lshlrev_b32_e32 v114, 16, v61
	s_delay_alu instid0(VALU_DEP_4) | instskip(SKIP_2) | instid1(VALU_DEP_3)
	v_dual_fmac_f32 v4, v26, v60 :: v_dual_and_b32 v49, 0xffff0000, v49
	v_and_b32_e32 v61, 0xffff0000, v61
	v_dual_fmac_f32 v1, v24, v71 :: v_dual_lshlrev_b32 v94, 16, v41
	v_dual_fmac_f32 v4, v75, v114 :: v_dual_lshlrev_b32 v109, 16, v56
	s_delay_alu instid0(VALU_DEP_2) | instskip(SKIP_1) | instid1(VALU_DEP_3)
	v_dual_fmac_f32 v9, v75, v94 :: v_dual_and_b32 v56, 0xffff0000, v56
	v_dual_fmac_f32 v10, v26, v36 :: v_dual_and_b32 v41, 0xffff0000, v41
	v_fmac_f32_e32 v4, v76, v61
	s_delay_alu instid0(VALU_DEP_4) | instskip(SKIP_3) | instid1(VALU_DEP_4)
	v_dual_fmac_f32 v5, v25, v109 :: v_dual_and_b32 v46, 0xffff0000, v46
	v_dual_fmac_f32 v13, v75, v79 :: v_dual_lshlrev_b32 v106, 16, v53
	v_fmac_f32_e32 v1, v25, v125
	v_dual_fmac_f32 v12, v76, v29 :: v_dual_lshlrev_b32 v103, 16, v50
	v_fmac_f32_e32 v5, v26, v56
	s_delay_alu instid0(VALU_DEP_4) | instskip(SKIP_3) | instid1(VALU_DEP_4)
	v_dual_fmac_f32 v6, v75, v106 :: v_dual_lshlrev_b32 v101, 16, v48
	v_and_b32_e32 v44, 0xffff0000, v44
	v_and_b32_e32 v48, 0xffff0000, v48
	v_dual_fmac_f32 v13, v76, v21 :: v_dual_and_b32 v50, 0xffff0000, v50
	v_fmac_f32_e32 v7, v25, v101
	s_delay_alu instid0(VALU_DEP_4) | instskip(SKIP_1) | instid1(VALU_DEP_4)
	v_dual_fmac_f32 v8, v26, v44 :: v_dual_lshlrev_b32 v95, 16, v42
	v_and_b32_e32 v42, 0xffff0000, v42
	v_dual_fmac_f32 v13, v77, v80 :: v_dual_lshlrev_b32 v110, 16, v57
	s_delay_alu instid0(VALU_DEP_4) | instskip(SKIP_2) | instid1(VALU_DEP_4)
	v_dual_fmac_f32 v7, v26, v48 :: v_dual_fmac_f32 v10, v75, v90
	v_and_b32_e32 v64, 0xffff0000, v64
	v_fmac_f32_e32 v8, v75, v98
	v_fmac_f32_e32 v13, v78, v22
	s_delay_alu instid0(VALU_DEP_4) | instskip(SKIP_3) | instid1(VALU_DEP_4)
	v_fmac_f32_e32 v7, v75, v102
	v_and_b32_e32 v66, 0xffff0000, v66
	v_dual_fmac_f32 v5, v75, v110 :: v_dual_fmac_f32 v10, v76, v37
	v_and_b32_e32 v57, 0xffff0000, v57
	v_dual_fmac_f32 v7, v76, v49 :: v_dual_fmac_f32 v4, v77, v115
	v_fmac_f32_e32 v3, v25, v117
	s_delay_alu instid0(VALU_DEP_4) | instskip(SKIP_1) | instid1(VALU_DEP_3)
	v_dual_fmac_f32 v10, v77, v91 :: v_dual_lshlrev_b32 v107, 16, v54
	v_fmac_f32_e32 v8, v76, v45
	v_dual_fmac_f32 v3, v26, v64 :: v_dual_and_b32 v54, 0xffff0000, v54
	v_fmac_f32_e32 v5, v76, v57
	v_fmac_f32_e32 v7, v77, v103
	v_fmac_f32_e32 v1, v26, v72
	v_dual_fmac_f32 v12, v77, v83 :: v_dual_and_b32 v53, 0xffff0000, v53
	v_dual_fmac_f32 v3, v75, v118 :: v_dual_fmac_f32 v8, v77, v99
	v_and_b32_e32 v65, 0xffff0000, v65
	v_fmac_f32_e32 v5, v77, v111
	v_fmac_f32_e32 v1, v75, v18
	v_dual_fmac_f32 v9, v76, v41 :: v_dual_and_b32 v62, 0xffff0000, v62
	v_fmac_f32_e32 v6, v76, v53
	v_dual_fmac_f32 v8, v78, v46 :: v_dual_fmac_f32 v3, v76, v65
	s_delay_alu instid0(VALU_DEP_4) | instskip(NEXT) | instid1(VALU_DEP_4)
	v_dual_fmac_f32 v1, v76, v73 :: v_dual_and_b32 v74, 0xffff0000, v74
	v_fmac_f32_e32 v9, v77, v95
	s_delay_alu instid0(VALU_DEP_4) | instskip(NEXT) | instid1(VALU_DEP_4)
	v_fmac_f32_e32 v6, v77, v107
	v_fmac_f32_e32 v3, v77, v119
	s_delay_alu instid0(VALU_DEP_4)
	v_fmac_f32_e32 v1, v77, v126
	v_fmac_f32_e32 v12, v78, v30
	;; [unrolled: 1-line block ×12, first 2 shown]
	s_cbranch_scc0 .LBB44_1
; %bb.2:
	v_mbcnt_lo_u32_b32 v17, -1, 0
	v_lshrrev_b32_e32 v21, 5, v0
	s_delay_alu instid0(VALU_DEP_2) | instskip(SKIP_1) | instid1(VALU_DEP_2)
	v_xor_b32_e32 v14, 16, v17
	v_xor_b32_e32 v15, 8, v17
	v_cmp_gt_i32_e32 vcc_lo, 32, v14
	v_cndmask_b32_e32 v14, v17, v14, vcc_lo
	s_delay_alu instid0(VALU_DEP_3) | instskip(SKIP_1) | instid1(VALU_DEP_1)
	v_cmp_gt_i32_e32 vcc_lo, 32, v15
	v_cndmask_b32_e32 v15, v17, v15, vcc_lo
	v_lshlrev_b32_e32 v15, 2, v15
	s_delay_alu instid0(VALU_DEP_4) | instskip(SKIP_4) | instid1(VALU_DEP_1)
	v_lshlrev_b32_e32 v14, 2, v14
	ds_bpermute_b32 v16, v14, v13
	s_waitcnt lgkmcnt(0)
	v_add_f32_e32 v16, v13, v16
	v_xor_b32_e32 v13, 4, v17
	v_cmp_gt_i32_e32 vcc_lo, 32, v13
	v_cndmask_b32_e32 v13, v17, v13, vcc_lo
	s_delay_alu instid0(VALU_DEP_1)
	v_lshlrev_b32_e32 v13, 2, v13
	ds_bpermute_b32 v18, v15, v16
	s_waitcnt lgkmcnt(0)
	v_add_f32_e32 v18, v16, v18
	v_xor_b32_e32 v16, 2, v17
	ds_bpermute_b32 v19, v13, v18
	v_cmp_gt_i32_e32 vcc_lo, 32, v16
	s_waitcnt lgkmcnt(0)
	v_dual_cndmask_b32 v16, v17, v16 :: v_dual_add_f32 v19, v18, v19
	v_xor_b32_e32 v18, 1, v17
	s_delay_alu instid0(VALU_DEP_1) | instskip(NEXT) | instid1(VALU_DEP_3)
	v_cmp_gt_i32_e32 vcc_lo, 32, v18
	v_dual_cndmask_b32 v17, v17, v18 :: v_dual_lshlrev_b32 v16, 2, v16
	ds_bpermute_b32 v20, v16, v19
	v_lshlrev_b32_e32 v18, 2, v17
	v_and_b32_e32 v17, 31, v0
	s_delay_alu instid0(VALU_DEP_1)
	v_cmp_eq_u32_e32 vcc_lo, 0, v17
	v_lshlrev_b32_e32 v17, 2, v21
	s_waitcnt lgkmcnt(0)
	v_add_f32_e32 v19, v19, v20
	ds_bpermute_b32 v20, v18, v19
	s_and_saveexec_b32 s2, vcc_lo
	s_cbranch_execz .LBB44_4
; %bb.3:
	s_waitcnt lgkmcnt(0)
	v_add_f32_e32 v19, v19, v20
	ds_store_b32 v17, v19
.LBB44_4:
	s_or_b32 exec_lo, exec_lo, s2
	ds_bpermute_b32 v19, v14, v12
	s_waitcnt lgkmcnt(0)
	v_add_f32_e32 v12, v12, v19
	ds_bpermute_b32 v19, v15, v12
	s_waitcnt lgkmcnt(0)
	v_add_f32_e32 v12, v12, v19
	ds_bpermute_b32 v19, v13, v12
	s_waitcnt lgkmcnt(0)
	v_add_f32_e32 v12, v12, v19
	ds_bpermute_b32 v19, v16, v12
	s_waitcnt lgkmcnt(0)
	v_add_f32_e32 v12, v12, v19
	ds_bpermute_b32 v19, v18, v12
	s_and_saveexec_b32 s2, vcc_lo
	s_cbranch_execz .LBB44_6
; %bb.5:
	s_waitcnt lgkmcnt(0)
	v_add_f32_e32 v12, v12, v19
	ds_store_b32 v17, v12 offset:16
.LBB44_6:
	s_or_b32 exec_lo, exec_lo, s2
	ds_bpermute_b32 v12, v14, v11
	s_waitcnt lgkmcnt(0)
	v_add_f32_e32 v11, v11, v12
	ds_bpermute_b32 v12, v15, v11
	s_waitcnt lgkmcnt(0)
	v_add_f32_e32 v11, v11, v12
	ds_bpermute_b32 v12, v13, v11
	s_waitcnt lgkmcnt(0)
	v_add_f32_e32 v11, v11, v12
	ds_bpermute_b32 v12, v16, v11
	s_waitcnt lgkmcnt(0)
	v_add_f32_e32 v11, v11, v12
	ds_bpermute_b32 v12, v18, v11
	s_and_saveexec_b32 s2, vcc_lo
	s_cbranch_execz .LBB44_8
; %bb.7:
	s_waitcnt lgkmcnt(0)
	v_add_f32_e32 v11, v11, v12
	ds_store_b32 v17, v11 offset:32
.LBB44_8:
	;; [unrolled: 21-line block ×12, first 2 shown]
	s_or_b32 exec_lo, exec_lo, s2
	s_waitcnt lgkmcnt(0)
	s_barrier
	buffer_gl0_inv
	s_mov_b32 s2, exec_lo
	v_cmpx_eq_u32_e32 0, v0
	s_cbranch_execz .LBB44_30
; %bb.29:
	v_mov_b32_e32 v36, 0
	s_ashr_i32 s5, s4, 31
	ds_load_b128 v[0:3], v36
	ds_load_b128 v[4:7], v36 offset:16
	ds_load_b128 v[8:11], v36 offset:32
	;; [unrolled: 1-line block ×7, first 2 shown]
	s_lshl_b64 s[2:3], s[4:5], 2
	s_delay_alu instid0(SALU_CYCLE_1)
	s_add_u32 s0, s0, s2
	s_addc_u32 s1, s1, s3
	s_waitcnt lgkmcnt(4)
	v_add_f32_e32 v12, 0, v12
	v_add_f32_e32 v0, 0, v0
	s_waitcnt lgkmcnt(2)
	v_add_f32_e32 v20, 0, v20
	v_add_f32_e32 v4, 0, v4
	;; [unrolled: 3-line block ×3, first 2 shown]
	s_delay_alu instid0(VALU_DEP_3)
	v_dual_add_f32 v1, v4, v5 :: v_dual_add_f32 v8, 0, v8
	ds_load_b128 v[32:35], v36 offset:128
	v_add_f32_e32 v0, v0, v2
	v_dual_add_f32 v16, 0, v16 :: v_dual_add_f32 v1, v1, v6
	v_add_f32_e32 v4, v8, v9
	v_add_f32_e32 v9, v20, v21
	s_delay_alu instid0(VALU_DEP_4) | instskip(NEXT) | instid1(VALU_DEP_4)
	v_add_f32_e32 v21, v0, v3
	v_add_f32_e32 v8, v16, v17
	s_delay_alu instid0(VALU_DEP_4) | instskip(NEXT) | instid1(VALU_DEP_2)
	v_add_f32_e32 v2, v4, v10
	v_dual_add_f32 v17, v8, v18 :: v_dual_add_f32 v24, 0, v24
	v_dual_add_f32 v5, v12, v13 :: v_dual_add_f32 v18, v9, v22
	v_add_f32_e32 v22, v1, v7
	s_delay_alu instid0(VALU_DEP_3) | instskip(NEXT) | instid1(VALU_DEP_3)
	v_dual_add_f32 v17, v17, v19 :: v_dual_add_f32 v12, v24, v25
	v_add_f32_e32 v4, v5, v14
	v_dual_add_f32 v24, v2, v11 :: v_dual_mov_b32 v19, 0x1000
	v_add_f32_e32 v16, v28, v29
	s_delay_alu instid0(VALU_DEP_4) | instskip(NEXT) | instid1(VALU_DEP_4)
	v_add_f32_e32 v20, v12, v26
	v_add_f32_e32 v25, v4, v15
	ds_load_b128 v[0:3], v36 offset:144
	ds_load_b128 v[4:7], v36 offset:160
	;; [unrolled: 1-line block ×4, first 2 shown]
	v_add_f32_e32 v16, v16, v30
	v_add_f32_e32 v20, v20, v27
	s_delay_alu instid0(VALU_DEP_2)
	v_add_f32_e32 v16, v16, v31
	s_waitcnt lgkmcnt(3)
	v_add_f32_e32 v0, 0, v0
	s_waitcnt lgkmcnt(2)
	v_add_f32_e32 v4, 0, v4
	s_waitcnt lgkmcnt(1)
	v_add_f32_e32 v8, 0, v8
	s_waitcnt lgkmcnt(0)
	v_add_f32_e32 v12, 0, v12
	v_add_f32_e32 v0, v0, v1
	v_dual_add_f32 v1, v4, v5 :: v_dual_add_f32 v18, v18, v23
	s_delay_alu instid0(VALU_DEP_3)
	v_add_f32_e32 v5, v12, v13
	v_dual_add_f32 v23, 0, v32 :: v_dual_add_f32 v4, v8, v9
	s_clause 0x7
	global_store_b32 v36, v21, s[0:1]
	global_store_b32 v36, v22, s[0:1] offset:1024
	global_store_b32 v36, v24, s[0:1] offset:2048
	;; [unrolled: 1-line block ×3, first 2 shown]
	global_store_b32 v19, v17, s[0:1]
	global_store_b32 v19, v18, s[0:1] offset:1024
	global_store_b32 v19, v20, s[0:1] offset:2048
	;; [unrolled: 1-line block ×3, first 2 shown]
	v_add_f32_e32 v0, v0, v2
	v_add_f32_e32 v1, v1, v6
	;; [unrolled: 1-line block ×5, first 2 shown]
	v_dual_add_f32 v0, v0, v3 :: v_dual_mov_b32 v5, 0x2000
	v_add_f32_e32 v1, v1, v7
	s_delay_alu instid0(VALU_DEP_4) | instskip(NEXT) | instid1(VALU_DEP_4)
	v_add_f32_e32 v3, v4, v15
	v_add_f32_e32 v16, v16, v34
	;; [unrolled: 1-line block ×3, first 2 shown]
	v_mov_b32_e32 v4, 0x3000
	s_delay_alu instid0(VALU_DEP_3)
	v_add_f32_e32 v8, v16, v35
	s_clause 0x4
	global_store_b32 v5, v8, s[0:1]
	global_store_b32 v5, v0, s[0:1] offset:1024
	global_store_b32 v5, v1, s[0:1] offset:2048
	;; [unrolled: 1-line block ×3, first 2 shown]
	global_store_b32 v4, v3, s[0:1]
.LBB44_30:
	s_nop 0
	s_sendmsg sendmsg(MSG_DEALLOC_VGPRS)
	s_endpgm
	.section	.rodata,"a",@progbits
	.p2align	6, 0x0
	.amdhsa_kernel _Z23fp32_router_gemm_kernelI14__hip_bfloat16Li128ELi13ELi256ELi3072EEvPfPKT_PKf
		.amdhsa_group_segment_fixed_size 208
		.amdhsa_private_segment_fixed_size 0
		.amdhsa_kernarg_size 24
		.amdhsa_user_sgpr_count 15
		.amdhsa_user_sgpr_dispatch_ptr 0
		.amdhsa_user_sgpr_queue_ptr 0
		.amdhsa_user_sgpr_kernarg_segment_ptr 1
		.amdhsa_user_sgpr_dispatch_id 0
		.amdhsa_user_sgpr_private_segment_size 0
		.amdhsa_wavefront_size32 1
		.amdhsa_uses_dynamic_stack 0
		.amdhsa_enable_private_segment 0
		.amdhsa_system_sgpr_workgroup_id_x 1
		.amdhsa_system_sgpr_workgroup_id_y 0
		.amdhsa_system_sgpr_workgroup_id_z 0
		.amdhsa_system_sgpr_workgroup_info 0
		.amdhsa_system_vgpr_workitem_id 0
		.amdhsa_next_free_vgpr 127
		.amdhsa_next_free_sgpr 16
		.amdhsa_reserve_vcc 1
		.amdhsa_float_round_mode_32 0
		.amdhsa_float_round_mode_16_64 0
		.amdhsa_float_denorm_mode_32 3
		.amdhsa_float_denorm_mode_16_64 3
		.amdhsa_dx10_clamp 1
		.amdhsa_ieee_mode 1
		.amdhsa_fp16_overflow 0
		.amdhsa_workgroup_processor_mode 1
		.amdhsa_memory_ordered 1
		.amdhsa_forward_progress 0
		.amdhsa_shared_vgpr_count 0
		.amdhsa_exception_fp_ieee_invalid_op 0
		.amdhsa_exception_fp_denorm_src 0
		.amdhsa_exception_fp_ieee_div_zero 0
		.amdhsa_exception_fp_ieee_overflow 0
		.amdhsa_exception_fp_ieee_underflow 0
		.amdhsa_exception_fp_ieee_inexact 0
		.amdhsa_exception_int_div_zero 0
	.end_amdhsa_kernel
	.section	.text._Z23fp32_router_gemm_kernelI14__hip_bfloat16Li128ELi13ELi256ELi3072EEvPfPKT_PKf,"axG",@progbits,_Z23fp32_router_gemm_kernelI14__hip_bfloat16Li128ELi13ELi256ELi3072EEvPfPKT_PKf,comdat
.Lfunc_end44:
	.size	_Z23fp32_router_gemm_kernelI14__hip_bfloat16Li128ELi13ELi256ELi3072EEvPfPKT_PKf, .Lfunc_end44-_Z23fp32_router_gemm_kernelI14__hip_bfloat16Li128ELi13ELi256ELi3072EEvPfPKT_PKf
                                        ; -- End function
	.section	.AMDGPU.csdata,"",@progbits
; Kernel info:
; codeLenInByte = 3688
; NumSgprs: 18
; NumVgprs: 127
; ScratchSize: 0
; MemoryBound: 0
; FloatMode: 240
; IeeeMode: 1
; LDSByteSize: 208 bytes/workgroup (compile time only)
; SGPRBlocks: 2
; VGPRBlocks: 15
; NumSGPRsForWavesPerEU: 18
; NumVGPRsForWavesPerEU: 127
; Occupancy: 10
; WaveLimiterHint : 1
; COMPUTE_PGM_RSRC2:SCRATCH_EN: 0
; COMPUTE_PGM_RSRC2:USER_SGPR: 15
; COMPUTE_PGM_RSRC2:TRAP_HANDLER: 0
; COMPUTE_PGM_RSRC2:TGID_X_EN: 1
; COMPUTE_PGM_RSRC2:TGID_Y_EN: 0
; COMPUTE_PGM_RSRC2:TGID_Z_EN: 0
; COMPUTE_PGM_RSRC2:TIDIG_COMP_CNT: 0
	.section	.text._Z23fp32_router_gemm_kernelI14__hip_bfloat16Li128ELi14ELi256ELi3072EEvPfPKT_PKf,"axG",@progbits,_Z23fp32_router_gemm_kernelI14__hip_bfloat16Li128ELi14ELi256ELi3072EEvPfPKT_PKf,comdat
	.protected	_Z23fp32_router_gemm_kernelI14__hip_bfloat16Li128ELi14ELi256ELi3072EEvPfPKT_PKf ; -- Begin function _Z23fp32_router_gemm_kernelI14__hip_bfloat16Li128ELi14ELi256ELi3072EEvPfPKT_PKf
	.globl	_Z23fp32_router_gemm_kernelI14__hip_bfloat16Li128ELi14ELi256ELi3072EEvPfPKT_PKf
	.p2align	8
	.type	_Z23fp32_router_gemm_kernelI14__hip_bfloat16Li128ELi14ELi256ELi3072EEvPfPKT_PKf,@function
_Z23fp32_router_gemm_kernelI14__hip_bfloat16Li128ELi14ELi256ELi3072EEvPfPKT_PKf: ; @_Z23fp32_router_gemm_kernelI14__hip_bfloat16Li128ELi14ELi256ELi3072EEvPfPKT_PKf
; %bb.0:
	s_clause 0x1
	s_load_b64 s[8:9], s[0:1], 0x10
	s_load_b128 s[0:3], s[0:1], 0x0
	v_dual_mov_b32 v14, 0 :: v_dual_lshlrev_b32 v15, 3, v0
	s_mul_i32 s6, s15, 0xc00
	v_dual_mov_b32 v13, 0 :: v_dual_mov_b32 v12, 0
	s_ashr_i32 s7, s6, 31
	s_delay_alu instid0(VALU_DEP_2)
	v_or_b32_e32 v16, 0x400, v15
	s_lshl_b64 s[6:7], s[6:7], 2
	v_or_b32_e32 v17, 0x800, v15
	v_dual_mov_b32 v11, 0 :: v_dual_mov_b32 v10, 0
	v_dual_mov_b32 v9, 0 :: v_dual_mov_b32 v8, 0
	;; [unrolled: 1-line block ×5, first 2 shown]
	v_mov_b32_e32 v1, 0
	s_waitcnt lgkmcnt(0)
	s_add_u32 s6, s8, s6
	s_mov_b32 s4, s15
	s_addc_u32 s7, s9, s7
	s_mov_b64 s[8:9], 0
.LBB45_1:                               ; =>This Inner Loop Header: Depth=1
	s_delay_alu instid0(SALU_CYCLE_1)
	s_cmp_eq_u32 s8, 1
	s_cselect_b32 vcc_lo, -1, 0
	s_cmp_eq_u32 s8, 2
	v_cndmask_b32_e32 v18, v15, v16, vcc_lo
	s_cselect_b32 vcc_lo, -1, 0
	s_add_u32 s8, s8, 1
	s_addc_u32 s9, s9, 0
	s_cmp_eq_u32 s8, 3
	v_cndmask_b32_e32 v18, v18, v17, vcc_lo
	s_delay_alu instid0(VALU_DEP_1) | instskip(SKIP_2) | instid1(VALU_DEP_1)
	v_lshlrev_b32_e32 v80, 2, v18
	global_load_b128 v[24:27], v80, s[6:7]
	v_lshlrev_b32_e32 v19, 1, v18
	v_add_co_u32 v28, s5, s2, v19
	s_delay_alu instid0(VALU_DEP_1)
	v_add_co_ci_u32_e64 v29, null, s3, 0, s5
	global_load_b128 v[20:23], v19, s[2:3]
	v_add_co_u32 v18, vcc_lo, 0x1000, v28
	v_add_co_ci_u32_e32 v19, vcc_lo, 0, v29, vcc_lo
	v_add_co_u32 v32, vcc_lo, 0x3000, v28
	v_add_co_ci_u32_e32 v33, vcc_lo, 0, v29, vcc_lo
	;; [unrolled: 2-line block ×13, first 2 shown]
	s_clause 0xc
	global_load_b128 v[28:31], v[18:19], off offset:2048
	global_load_b128 v[32:35], v[32:33], off
	global_load_b128 v[36:39], v[36:37], off offset:2048
	global_load_b128 v[40:43], v[40:41], off
	;; [unrolled: 2-line block ×6, first 2 shown]
	global_load_b128 v[76:79], v[76:77], off offset:2048
	global_load_b128 v[80:83], v80, s[6:7] offset:16
	s_waitcnt vmcnt(14)
	v_and_b32_e32 v19, 0xffff0000, v20
	s_waitcnt vmcnt(7)
	v_lshlrev_b32_e32 v109, 16, v52
	v_lshlrev_b32_e32 v84, 16, v22
	s_waitcnt vmcnt(5)
	v_lshlrev_b32_e32 v117, 16, v60
	v_and_b32_e32 v22, 0xffff0000, v22
	v_and_b32_e32 v60, 0xffff0000, v60
	v_lshlrev_b32_e32 v118, 16, v61
	s_waitcnt vmcnt(2)
	v_lshlrev_b32_e32 v131, 16, v74
	v_fmac_f32_e32 v5, v24, v117
	v_lshlrev_b32_e32 v121, 16, v64
	v_lshlrev_b32_e32 v91, 16, v34
	v_and_b32_e32 v34, 0xffff0000, v34
	s_waitcnt vmcnt(1)
	v_lshlrev_b32_e32 v133, 16, v76
	v_dual_fmac_f32 v5, v25, v60 :: v_dual_lshlrev_b32 v98, 16, v41
	v_lshlrev_b32_e32 v125, 16, v68
	s_delay_alu instid0(VALU_DEP_3) | instskip(NEXT) | instid1(VALU_DEP_3)
	v_dual_fmac_f32 v1, v24, v133 :: v_dual_and_b32 v76, 0xffff0000, v76
	v_fmac_f32_e32 v5, v26, v118
	v_lshlrev_b32_e32 v101, 16, v44
	v_lshlrev_b32_e32 v18, 16, v20
	s_delay_alu instid0(VALU_DEP_4) | instskip(SKIP_1) | instid1(VALU_DEP_4)
	v_dual_fmac_f32 v1, v25, v76 :: v_dual_lshlrev_b32 v94, 16, v37
	v_lshlrev_b32_e32 v134, 16, v77
	v_fmac_f32_e32 v9, v24, v101
	s_delay_alu instid0(VALU_DEP_4)
	v_dual_fmac_f32 v14, v24, v18 :: v_dual_lshlrev_b32 v85, 16, v23
	v_dual_fmac_f32 v3, v24, v125 :: v_dual_lshlrev_b32 v18, 16, v28
	v_and_b32_e32 v28, 0xffff0000, v28
	v_dual_fmac_f32 v1, v26, v134 :: v_dual_and_b32 v44, 0xffff0000, v44
	v_lshlrev_b32_e32 v132, 16, v75
	v_and_b32_e32 v77, 0xffff0000, v77
	v_dual_fmac_f32 v13, v24, v18 :: v_dual_lshlrev_b32 v20, 16, v21
	v_lshlrev_b32_e32 v86, 16, v29
	v_dual_fmac_f32 v14, v25, v19 :: v_dual_and_b32 v29, 0xffff0000, v29
	s_delay_alu instid0(VALU_DEP_4)
	v_dual_fmac_f32 v1, v27, v77 :: v_dual_lshlrev_b32 v108, 16, v51
	v_lshlrev_b32_e32 v19, 16, v78
	v_and_b32_e32 v21, 0xffff0000, v21
	v_lshlrev_b32_e32 v114, 16, v57
	v_and_b32_e32 v78, 0xffff0000, v78
	s_waitcnt vmcnt(0)
	v_dual_fmac_f32 v14, v26, v20 :: v_dual_fmac_f32 v1, v80, v19
	v_lshlrev_b32_e32 v93, 16, v36
	v_lshlrev_b32_e32 v122, 16, v65
	s_delay_alu instid0(VALU_DEP_3) | instskip(NEXT) | instid1(VALU_DEP_4)
	v_dual_fmac_f32 v14, v27, v21 :: v_dual_lshlrev_b32 v135, 16, v79
	v_dual_fmac_f32 v1, v81, v78 :: v_dual_and_b32 v68, 0xffff0000, v68
	v_lshlrev_b32_e32 v126, 16, v69
	v_lshlrev_b32_e32 v130, 16, v73
	v_and_b32_e32 v73, 0xffff0000, v73
	v_lshlrev_b32_e32 v113, 16, v56
	v_lshlrev_b32_e32 v89, 16, v32
	v_fmac_f32_e32 v7, v24, v109
	v_dual_fmac_f32 v14, v80, v84 :: v_dual_fmac_f32 v1, v82, v135
	s_delay_alu instid0(VALU_DEP_4)
	v_fmac_f32_e32 v6, v24, v113
	v_dual_fmac_f32 v3, v25, v68 :: v_dual_lshlrev_b32 v92, 16, v35
	v_lshlrev_b32_e32 v100, 16, v43
	v_and_b32_e32 v43, 0xffff0000, v43
	v_dual_fmac_f32 v12, v24, v89 :: v_dual_and_b32 v23, 0xffff0000, v23
	v_dual_fmac_f32 v14, v81, v22 :: v_dual_and_b32 v51, 0xffff0000, v51
	v_lshlrev_b32_e32 v127, 16, v70
	v_lshlrev_b32_e32 v128, 16, v71
	v_and_b32_e32 v70, 0xffff0000, v70
	v_and_b32_e32 v64, 0xffff0000, v64
	v_dual_fmac_f32 v4, v24, v121 :: v_dual_fmac_f32 v13, v25, v28
	v_and_b32_e32 v32, 0xffff0000, v32
	v_and_b32_e32 v41, 0xffff0000, v41
	;; [unrolled: 1-line block ×3, first 2 shown]
	v_lshlrev_b32_e32 v90, 16, v33
	v_dual_fmac_f32 v14, v82, v85 :: v_dual_lshlrev_b32 v115, 16, v58
	v_dual_fmac_f32 v4, v25, v64 :: v_dual_and_b32 v61, 0xffff0000, v61
	v_lshlrev_b32_e32 v105, 16, v48
	v_fmac_f32_e32 v13, v26, v86
	v_dual_fmac_f32 v12, v25, v32 :: v_dual_and_b32 v33, 0xffff0000, v33
	v_dual_fmac_f32 v9, v25, v44 :: v_dual_lshlrev_b32 v88, 16, v31
	v_dual_fmac_f32 v5, v27, v61 :: v_dual_and_b32 v48, 0xffff0000, v48
	v_fmac_f32_e32 v7, v25, v52
	s_delay_alu instid0(VALU_DEP_4)
	v_dual_fmac_f32 v12, v26, v90 :: v_dual_lshlrev_b32 v97, 16, v40
	v_lshlrev_b32_e32 v87, 16, v30
	v_dual_fmac_f32 v4, v26, v122 :: v_dual_and_b32 v31, 0xffff0000, v31
	v_dual_fmac_f32 v8, v24, v105 :: v_dual_lshlrev_b32 v95, 16, v38
	v_dual_fmac_f32 v13, v27, v29 :: v_dual_and_b32 v38, 0xffff0000, v38
	v_dual_fmac_f32 v11, v24, v93 :: v_dual_and_b32 v36, 0xffff0000, v36
	v_and_b32_e32 v30, 0xffff0000, v30
	v_fmac_f32_e32 v10, v24, v97
	s_delay_alu instid0(VALU_DEP_4) | instskip(SKIP_3) | instid1(VALU_DEP_3)
	v_dual_fmac_f32 v13, v80, v87 :: v_dual_lshlrev_b32 v102, 16, v45
	v_lshlrev_b32_e32 v129, 16, v72
	v_dual_fmac_f32 v11, v25, v36 :: v_dual_lshlrev_b32 v112, 16, v55
	v_and_b32_e32 v35, 0xffff0000, v35
	v_dual_fmac_f32 v13, v81, v30 :: v_dual_fmac_f32 v2, v24, v129
	v_and_b32_e32 v58, 0xffff0000, v58
	v_dual_fmac_f32 v12, v27, v33 :: v_dual_lshlrev_b32 v103, 16, v46
	s_delay_alu instid0(VALU_DEP_3) | instskip(SKIP_2) | instid1(VALU_DEP_3)
	v_fmac_f32_e32 v13, v82, v88
	v_dual_fmac_f32 v11, v26, v94 :: v_dual_and_b32 v72, 0xffff0000, v72
	v_dual_fmac_f32 v9, v26, v102 :: v_dual_lshlrev_b32 v96, 16, v39
	v_fmac_f32_e32 v13, v83, v31
	s_delay_alu instid0(VALU_DEP_3)
	v_dual_fmac_f32 v2, v25, v72 :: v_dual_lshlrev_b32 v99, 16, v42
	v_and_b32_e32 v57, 0xffff0000, v57
	v_lshlrev_b32_e32 v111, 16, v54
	v_lshlrev_b32_e32 v110, 16, v53
	v_and_b32_e32 v40, 0xffff0000, v40
	v_dual_fmac_f32 v12, v80, v91 :: v_dual_and_b32 v53, 0xffff0000, v53
	v_dual_fmac_f32 v14, v83, v23 :: v_dual_and_b32 v65, 0xffff0000, v65
	s_delay_alu instid0(VALU_DEP_4) | instskip(NEXT) | instid1(VALU_DEP_4)
	v_fmac_f32_e32 v7, v26, v110
	v_dual_fmac_f32 v10, v25, v40 :: v_dual_and_b32 v37, 0xffff0000, v37
	v_and_b32_e32 v42, 0xffff0000, v42
	v_fmac_f32_e32 v8, v25, v48
	s_delay_alu instid0(VALU_DEP_3) | instskip(SKIP_2) | instid1(VALU_DEP_3)
	v_dual_fmac_f32 v12, v81, v34 :: v_dual_fmac_f32 v11, v27, v37
	v_lshlrev_b32_e32 v106, 16, v49
	v_dual_fmac_f32 v4, v27, v65 :: v_dual_and_b32 v55, 0xffff0000, v55
	v_dual_fmac_f32 v12, v82, v92 :: v_dual_lshlrev_b32 v123, 16, v66
	s_delay_alu instid0(VALU_DEP_4) | instskip(NEXT) | instid1(VALU_DEP_4)
	v_fmac_f32_e32 v11, v80, v95
	v_dual_fmac_f32 v8, v26, v106 :: v_dual_and_b32 v45, 0xffff0000, v45
	v_lshlrev_b32_e32 v116, 16, v59
	v_and_b32_e32 v59, 0xffff0000, v59
	s_delay_alu instid0(VALU_DEP_3) | instskip(SKIP_2) | instid1(VALU_DEP_3)
	v_dual_fmac_f32 v9, v27, v45 :: v_dual_and_b32 v46, 0xffff0000, v46
	v_dual_fmac_f32 v4, v80, v123 :: v_dual_lshlrev_b32 v119, 16, v62
	v_and_b32_e32 v54, 0xffff0000, v54
	v_dual_fmac_f32 v10, v26, v98 :: v_dual_fmac_f32 v9, v80, v103
	s_delay_alu instid0(VALU_DEP_3)
	v_fmac_f32_e32 v5, v80, v119
	v_fmac_f32_e32 v11, v81, v38
	v_and_b32_e32 v62, 0xffff0000, v62
	v_dual_fmac_f32 v7, v27, v53 :: v_dual_lshlrev_b32 v104, 16, v47
	v_dual_fmac_f32 v10, v27, v41 :: v_dual_lshlrev_b32 v107, 16, v50
	v_fmac_f32_e32 v9, v81, v46
	v_dual_fmac_f32 v11, v82, v96 :: v_dual_lshlrev_b32 v120, 16, v63
	v_fmac_f32_e32 v5, v81, v62
	s_delay_alu instid0(VALU_DEP_3) | instskip(SKIP_1) | instid1(VALU_DEP_2)
	v_dual_fmac_f32 v9, v82, v104 :: v_dual_and_b32 v66, 0xffff0000, v66
	v_dual_fmac_f32 v10, v80, v99 :: v_dual_and_b32 v69, 0xffff0000, v69
	v_dual_fmac_f32 v5, v82, v120 :: v_dual_fmac_f32 v4, v81, v66
	v_fmac_f32_e32 v3, v26, v126
	v_and_b32_e32 v50, 0xffff0000, v50
	s_delay_alu instid0(VALU_DEP_4) | instskip(SKIP_1) | instid1(VALU_DEP_4)
	v_dual_fmac_f32 v10, v81, v42 :: v_dual_and_b32 v63, 0xffff0000, v63
	v_and_b32_e32 v79, 0xffff0000, v79
	v_fmac_f32_e32 v3, v27, v69
	v_fmac_f32_e32 v12, v83, v35
	s_delay_alu instid0(VALU_DEP_4) | instskip(NEXT) | instid1(VALU_DEP_3)
	v_dual_fmac_f32 v5, v83, v63 :: v_dual_fmac_f32 v10, v82, v100
	v_dual_fmac_f32 v3, v80, v127 :: v_dual_and_b32 v56, 0xffff0000, v56
	v_and_b32_e32 v39, 0xffff0000, v39
	v_fmac_f32_e32 v1, v83, v79
	s_delay_alu instid0(VALU_DEP_4) | instskip(NEXT) | instid1(VALU_DEP_4)
	v_fmac_f32_e32 v10, v83, v43
	v_dual_fmac_f32 v6, v25, v56 :: v_dual_and_b32 v47, 0xffff0000, v47
	s_delay_alu instid0(VALU_DEP_4) | instskip(SKIP_1) | instid1(VALU_DEP_3)
	v_fmac_f32_e32 v11, v83, v39
	v_dual_fmac_f32 v2, v26, v130 :: v_dual_and_b32 v49, 0xffff0000, v49
	v_fmac_f32_e32 v6, v26, v114
	s_delay_alu instid0(VALU_DEP_4) | instskip(NEXT) | instid1(VALU_DEP_3)
	v_dual_fmac_f32 v9, v83, v47 :: v_dual_and_b32 v74, 0xffff0000, v74
	v_dual_fmac_f32 v8, v27, v49 :: v_dual_fmac_f32 v3, v81, v70
	s_delay_alu instid0(VALU_DEP_3) | instskip(NEXT) | instid1(VALU_DEP_2)
	v_dual_fmac_f32 v6, v27, v57 :: v_dual_fmac_f32 v7, v80, v111
	v_dual_fmac_f32 v8, v80, v107 :: v_dual_fmac_f32 v3, v82, v128
	s_delay_alu instid0(VALU_DEP_2) | instskip(SKIP_1) | instid1(VALU_DEP_3)
	v_dual_fmac_f32 v6, v80, v115 :: v_dual_fmac_f32 v7, v81, v54
	v_lshlrev_b32_e32 v124, 16, v67
	v_dual_fmac_f32 v8, v81, v50 :: v_dual_and_b32 v67, 0xffff0000, v67
	s_delay_alu instid0(VALU_DEP_3) | instskip(NEXT) | instid1(VALU_DEP_3)
	v_dual_fmac_f32 v6, v81, v58 :: v_dual_fmac_f32 v7, v82, v112
	v_dual_fmac_f32 v4, v82, v124 :: v_dual_and_b32 v75, 0xffff0000, v75
	s_delay_alu instid0(VALU_DEP_3) | instskip(SKIP_1) | instid1(VALU_DEP_4)
	v_fmac_f32_e32 v8, v82, v108
	v_fmac_f32_e32 v2, v27, v73
	v_dual_fmac_f32 v6, v82, v116 :: v_dual_fmac_f32 v7, v83, v55
	s_delay_alu instid0(VALU_DEP_4) | instskip(NEXT) | instid1(VALU_DEP_4)
	v_fmac_f32_e32 v4, v83, v67
	v_fmac_f32_e32 v8, v83, v51
	s_delay_alu instid0(VALU_DEP_4) | instskip(SKIP_2) | instid1(VALU_DEP_2)
	v_fmac_f32_e32 v2, v80, v131
	v_and_b32_e32 v71, 0xffff0000, v71
	v_fmac_f32_e32 v6, v83, v59
	v_dual_fmac_f32 v2, v81, v74 :: v_dual_fmac_f32 v3, v83, v71
	s_delay_alu instid0(VALU_DEP_1) | instskip(NEXT) | instid1(VALU_DEP_1)
	v_fmac_f32_e32 v2, v82, v132
	v_fmac_f32_e32 v2, v83, v75
	s_cbranch_scc0 .LBB45_1
; %bb.2:
	v_mbcnt_lo_u32_b32 v18, -1, 0
	v_lshrrev_b32_e32 v22, 5, v0
	s_delay_alu instid0(VALU_DEP_2) | instskip(SKIP_1) | instid1(VALU_DEP_2)
	v_xor_b32_e32 v15, 16, v18
	v_xor_b32_e32 v16, 8, v18
	v_cmp_gt_i32_e32 vcc_lo, 32, v15
	v_cndmask_b32_e32 v15, v18, v15, vcc_lo
	s_delay_alu instid0(VALU_DEP_3) | instskip(SKIP_1) | instid1(VALU_DEP_1)
	v_cmp_gt_i32_e32 vcc_lo, 32, v16
	v_cndmask_b32_e32 v16, v18, v16, vcc_lo
	v_lshlrev_b32_e32 v16, 2, v16
	s_delay_alu instid0(VALU_DEP_4) | instskip(SKIP_4) | instid1(VALU_DEP_1)
	v_lshlrev_b32_e32 v15, 2, v15
	ds_bpermute_b32 v17, v15, v14
	s_waitcnt lgkmcnt(0)
	v_add_f32_e32 v17, v14, v17
	v_xor_b32_e32 v14, 4, v18
	v_cmp_gt_i32_e32 vcc_lo, 32, v14
	v_cndmask_b32_e32 v14, v18, v14, vcc_lo
	s_delay_alu instid0(VALU_DEP_1)
	v_lshlrev_b32_e32 v14, 2, v14
	ds_bpermute_b32 v19, v16, v17
	s_waitcnt lgkmcnt(0)
	v_add_f32_e32 v19, v17, v19
	v_xor_b32_e32 v17, 2, v18
	ds_bpermute_b32 v20, v14, v19
	v_cmp_gt_i32_e32 vcc_lo, 32, v17
	s_waitcnt lgkmcnt(0)
	v_dual_cndmask_b32 v17, v18, v17 :: v_dual_add_f32 v20, v19, v20
	v_xor_b32_e32 v19, 1, v18
	s_delay_alu instid0(VALU_DEP_1) | instskip(NEXT) | instid1(VALU_DEP_3)
	v_cmp_gt_i32_e32 vcc_lo, 32, v19
	v_dual_cndmask_b32 v18, v18, v19 :: v_dual_lshlrev_b32 v17, 2, v17
	ds_bpermute_b32 v21, v17, v20
	v_lshlrev_b32_e32 v19, 2, v18
	v_and_b32_e32 v18, 31, v0
	s_delay_alu instid0(VALU_DEP_1)
	v_cmp_eq_u32_e32 vcc_lo, 0, v18
	v_lshlrev_b32_e32 v18, 2, v22
	s_waitcnt lgkmcnt(0)
	v_add_f32_e32 v20, v20, v21
	ds_bpermute_b32 v21, v19, v20
	s_and_saveexec_b32 s2, vcc_lo
	s_cbranch_execz .LBB45_4
; %bb.3:
	s_waitcnt lgkmcnt(0)
	v_add_f32_e32 v20, v20, v21
	ds_store_b32 v18, v20
.LBB45_4:
	s_or_b32 exec_lo, exec_lo, s2
	ds_bpermute_b32 v20, v15, v13
	s_waitcnt lgkmcnt(0)
	v_add_f32_e32 v13, v13, v20
	ds_bpermute_b32 v20, v16, v13
	s_waitcnt lgkmcnt(0)
	v_add_f32_e32 v13, v13, v20
	ds_bpermute_b32 v20, v14, v13
	s_waitcnt lgkmcnt(0)
	v_add_f32_e32 v13, v13, v20
	ds_bpermute_b32 v20, v17, v13
	s_waitcnt lgkmcnt(0)
	v_add_f32_e32 v13, v13, v20
	ds_bpermute_b32 v20, v19, v13
	s_and_saveexec_b32 s2, vcc_lo
	s_cbranch_execz .LBB45_6
; %bb.5:
	s_waitcnt lgkmcnt(0)
	v_add_f32_e32 v13, v13, v20
	ds_store_b32 v18, v13 offset:16
.LBB45_6:
	s_or_b32 exec_lo, exec_lo, s2
	ds_bpermute_b32 v13, v15, v12
	s_waitcnt lgkmcnt(0)
	v_add_f32_e32 v12, v12, v13
	ds_bpermute_b32 v13, v16, v12
	s_waitcnt lgkmcnt(0)
	v_add_f32_e32 v12, v12, v13
	ds_bpermute_b32 v13, v14, v12
	s_waitcnt lgkmcnt(0)
	v_add_f32_e32 v12, v12, v13
	ds_bpermute_b32 v13, v17, v12
	s_waitcnt lgkmcnt(0)
	v_add_f32_e32 v12, v12, v13
	ds_bpermute_b32 v13, v19, v12
	s_and_saveexec_b32 s2, vcc_lo
	s_cbranch_execz .LBB45_8
; %bb.7:
	s_waitcnt lgkmcnt(0)
	v_add_f32_e32 v12, v12, v13
	ds_store_b32 v18, v12 offset:32
.LBB45_8:
	s_or_b32 exec_lo, exec_lo, s2
	ds_bpermute_b32 v12, v15, v11
	s_waitcnt lgkmcnt(0)
	v_add_f32_e32 v11, v11, v12
	ds_bpermute_b32 v12, v16, v11
	s_waitcnt lgkmcnt(0)
	v_add_f32_e32 v11, v11, v12
	ds_bpermute_b32 v12, v14, v11
	s_waitcnt lgkmcnt(0)
	v_add_f32_e32 v11, v11, v12
	ds_bpermute_b32 v12, v17, v11
	s_waitcnt lgkmcnt(0)
	v_add_f32_e32 v11, v11, v12
	ds_bpermute_b32 v12, v19, v11
	s_and_saveexec_b32 s2, vcc_lo
	s_cbranch_execz .LBB45_10
; %bb.9:
	s_waitcnt lgkmcnt(0)
	v_add_f32_e32 v11, v11, v12
	ds_store_b32 v18, v11 offset:48
.LBB45_10:
	s_or_b32 exec_lo, exec_lo, s2
	ds_bpermute_b32 v11, v15, v10
	s_waitcnt lgkmcnt(0)
	v_add_f32_e32 v10, v10, v11
	ds_bpermute_b32 v11, v16, v10
	s_waitcnt lgkmcnt(0)
	v_add_f32_e32 v10, v10, v11
	ds_bpermute_b32 v11, v14, v10
	s_waitcnt lgkmcnt(0)
	v_add_f32_e32 v10, v10, v11
	ds_bpermute_b32 v11, v17, v10
	s_waitcnt lgkmcnt(0)
	v_add_f32_e32 v10, v10, v11
	ds_bpermute_b32 v11, v19, v10
	s_and_saveexec_b32 s2, vcc_lo
	s_cbranch_execz .LBB45_12
; %bb.11:
	s_waitcnt lgkmcnt(0)
	v_add_f32_e32 v10, v10, v11
	ds_store_b32 v18, v10 offset:64
.LBB45_12:
	s_or_b32 exec_lo, exec_lo, s2
	ds_bpermute_b32 v10, v15, v9
	s_waitcnt lgkmcnt(0)
	v_add_f32_e32 v9, v9, v10
	ds_bpermute_b32 v10, v16, v9
	s_waitcnt lgkmcnt(0)
	v_add_f32_e32 v9, v9, v10
	ds_bpermute_b32 v10, v14, v9
	s_waitcnt lgkmcnt(0)
	v_add_f32_e32 v9, v9, v10
	ds_bpermute_b32 v10, v17, v9
	s_waitcnt lgkmcnt(0)
	v_add_f32_e32 v9, v9, v10
	ds_bpermute_b32 v10, v19, v9
	s_and_saveexec_b32 s2, vcc_lo
	s_cbranch_execz .LBB45_14
; %bb.13:
	s_waitcnt lgkmcnt(0)
	v_add_f32_e32 v9, v9, v10
	ds_store_b32 v18, v9 offset:80
.LBB45_14:
	s_or_b32 exec_lo, exec_lo, s2
	ds_bpermute_b32 v9, v15, v8
	s_waitcnt lgkmcnt(0)
	v_add_f32_e32 v8, v8, v9
	ds_bpermute_b32 v9, v16, v8
	s_waitcnt lgkmcnt(0)
	v_add_f32_e32 v8, v8, v9
	ds_bpermute_b32 v9, v14, v8
	s_waitcnt lgkmcnt(0)
	v_add_f32_e32 v8, v8, v9
	ds_bpermute_b32 v9, v17, v8
	s_waitcnt lgkmcnt(0)
	v_add_f32_e32 v8, v8, v9
	ds_bpermute_b32 v9, v19, v8
	s_and_saveexec_b32 s2, vcc_lo
	s_cbranch_execz .LBB45_16
; %bb.15:
	s_waitcnt lgkmcnt(0)
	v_add_f32_e32 v8, v8, v9
	ds_store_b32 v18, v8 offset:96
.LBB45_16:
	s_or_b32 exec_lo, exec_lo, s2
	ds_bpermute_b32 v8, v15, v7
	s_waitcnt lgkmcnt(0)
	v_add_f32_e32 v7, v7, v8
	ds_bpermute_b32 v8, v16, v7
	s_waitcnt lgkmcnt(0)
	v_add_f32_e32 v7, v7, v8
	ds_bpermute_b32 v8, v14, v7
	s_waitcnt lgkmcnt(0)
	v_add_f32_e32 v7, v7, v8
	ds_bpermute_b32 v8, v17, v7
	s_waitcnt lgkmcnt(0)
	v_add_f32_e32 v7, v7, v8
	ds_bpermute_b32 v8, v19, v7
	s_and_saveexec_b32 s2, vcc_lo
	s_cbranch_execz .LBB45_18
; %bb.17:
	s_waitcnt lgkmcnt(0)
	v_add_f32_e32 v7, v7, v8
	ds_store_b32 v18, v7 offset:112
.LBB45_18:
	s_or_b32 exec_lo, exec_lo, s2
	ds_bpermute_b32 v7, v15, v6
	s_waitcnt lgkmcnt(0)
	v_add_f32_e32 v6, v6, v7
	ds_bpermute_b32 v7, v16, v6
	s_waitcnt lgkmcnt(0)
	v_add_f32_e32 v6, v6, v7
	ds_bpermute_b32 v7, v14, v6
	s_waitcnt lgkmcnt(0)
	v_add_f32_e32 v6, v6, v7
	ds_bpermute_b32 v7, v17, v6
	s_waitcnt lgkmcnt(0)
	v_add_f32_e32 v6, v6, v7
	ds_bpermute_b32 v7, v19, v6
	s_and_saveexec_b32 s2, vcc_lo
	s_cbranch_execz .LBB45_20
; %bb.19:
	s_waitcnt lgkmcnt(0)
	v_add_f32_e32 v6, v6, v7
	ds_store_b32 v18, v6 offset:128
.LBB45_20:
	s_or_b32 exec_lo, exec_lo, s2
	ds_bpermute_b32 v6, v15, v5
	s_waitcnt lgkmcnt(0)
	v_add_f32_e32 v5, v5, v6
	ds_bpermute_b32 v6, v16, v5
	s_waitcnt lgkmcnt(0)
	v_add_f32_e32 v5, v5, v6
	ds_bpermute_b32 v6, v14, v5
	s_waitcnt lgkmcnt(0)
	v_add_f32_e32 v5, v5, v6
	ds_bpermute_b32 v6, v17, v5
	s_waitcnt lgkmcnt(0)
	v_add_f32_e32 v5, v5, v6
	ds_bpermute_b32 v6, v19, v5
	s_and_saveexec_b32 s2, vcc_lo
	s_cbranch_execz .LBB45_22
; %bb.21:
	s_waitcnt lgkmcnt(0)
	v_add_f32_e32 v5, v5, v6
	ds_store_b32 v18, v5 offset:144
.LBB45_22:
	s_or_b32 exec_lo, exec_lo, s2
	ds_bpermute_b32 v5, v15, v4
	s_waitcnt lgkmcnt(0)
	v_add_f32_e32 v4, v4, v5
	ds_bpermute_b32 v5, v16, v4
	s_waitcnt lgkmcnt(0)
	v_add_f32_e32 v4, v4, v5
	ds_bpermute_b32 v5, v14, v4
	s_waitcnt lgkmcnt(0)
	v_add_f32_e32 v4, v4, v5
	ds_bpermute_b32 v5, v17, v4
	s_waitcnt lgkmcnt(0)
	v_add_f32_e32 v4, v4, v5
	ds_bpermute_b32 v5, v19, v4
	s_and_saveexec_b32 s2, vcc_lo
	s_cbranch_execz .LBB45_24
; %bb.23:
	s_waitcnt lgkmcnt(0)
	v_add_f32_e32 v4, v4, v5
	ds_store_b32 v18, v4 offset:160
.LBB45_24:
	s_or_b32 exec_lo, exec_lo, s2
	ds_bpermute_b32 v4, v15, v3
	s_waitcnt lgkmcnt(0)
	v_add_f32_e32 v3, v3, v4
	ds_bpermute_b32 v4, v16, v3
	s_waitcnt lgkmcnt(0)
	v_add_f32_e32 v3, v3, v4
	ds_bpermute_b32 v4, v14, v3
	s_waitcnt lgkmcnt(0)
	v_add_f32_e32 v3, v3, v4
	ds_bpermute_b32 v4, v17, v3
	s_waitcnt lgkmcnt(0)
	v_add_f32_e32 v3, v3, v4
	ds_bpermute_b32 v4, v19, v3
	s_and_saveexec_b32 s2, vcc_lo
	s_cbranch_execz .LBB45_26
; %bb.25:
	s_waitcnt lgkmcnt(0)
	v_add_f32_e32 v3, v3, v4
	ds_store_b32 v18, v3 offset:176
.LBB45_26:
	s_or_b32 exec_lo, exec_lo, s2
	ds_bpermute_b32 v3, v15, v2
	s_waitcnt lgkmcnt(0)
	v_add_f32_e32 v2, v2, v3
	ds_bpermute_b32 v3, v16, v2
	s_waitcnt lgkmcnt(0)
	v_add_f32_e32 v2, v2, v3
	ds_bpermute_b32 v3, v14, v2
	s_waitcnt lgkmcnt(0)
	v_add_f32_e32 v2, v2, v3
	ds_bpermute_b32 v3, v17, v2
	s_waitcnt lgkmcnt(0)
	v_add_f32_e32 v2, v2, v3
	ds_bpermute_b32 v3, v19, v2
	s_and_saveexec_b32 s2, vcc_lo
	s_cbranch_execz .LBB45_28
; %bb.27:
	s_waitcnt lgkmcnt(0)
	v_add_f32_e32 v2, v2, v3
	ds_store_b32 v18, v2 offset:192
.LBB45_28:
	s_or_b32 exec_lo, exec_lo, s2
	ds_bpermute_b32 v2, v15, v1
	s_waitcnt lgkmcnt(0)
	v_add_f32_e32 v1, v1, v2
	ds_bpermute_b32 v2, v16, v1
	s_waitcnt lgkmcnt(0)
	v_add_f32_e32 v1, v1, v2
	ds_bpermute_b32 v2, v14, v1
	s_waitcnt lgkmcnt(0)
	v_add_f32_e32 v1, v1, v2
	ds_bpermute_b32 v2, v17, v1
	s_waitcnt lgkmcnt(0)
	v_add_f32_e32 v1, v1, v2
	ds_bpermute_b32 v2, v19, v1
	s_and_saveexec_b32 s2, vcc_lo
	s_cbranch_execz .LBB45_30
; %bb.29:
	s_waitcnt lgkmcnt(0)
	v_add_f32_e32 v1, v1, v2
	ds_store_b32 v18, v1 offset:208
.LBB45_30:
	s_or_b32 exec_lo, exec_lo, s2
	s_waitcnt lgkmcnt(0)
	s_barrier
	buffer_gl0_inv
	s_mov_b32 s2, exec_lo
	v_cmpx_eq_u32_e32 0, v0
	s_cbranch_execz .LBB45_32
; %bb.31:
	v_dual_mov_b32 v36, 0 :: v_dual_mov_b32 v37, 0x1000
	s_ashr_i32 s5, s4, 31
	ds_load_b128 v[0:3], v36
	ds_load_b128 v[4:7], v36 offset:16
	ds_load_b128 v[8:11], v36 offset:32
	ds_load_b128 v[12:15], v36 offset:48
	ds_load_b128 v[16:19], v36 offset:64
	ds_load_b128 v[20:23], v36 offset:80
	ds_load_b128 v[24:27], v36 offset:96
	ds_load_b128 v[28:31], v36 offset:112
	ds_load_b128 v[32:35], v36 offset:128
	s_lshl_b64 s[2:3], s[4:5], 2
	s_delay_alu instid0(SALU_CYCLE_1)
	s_add_u32 s0, s0, s2
	s_addc_u32 s1, s1, s3
	s_waitcnt lgkmcnt(3)
	v_add_f32_e32 v20, 0, v20
	v_add_f32_e32 v8, 0, v8
	s_waitcnt lgkmcnt(1)
	v_add_f32_e32 v28, 0, v28
	v_add_f32_e32 v12, 0, v12
	;; [unrolled: 1-line block ×4, first 2 shown]
	s_delay_alu instid0(VALU_DEP_1) | instskip(NEXT) | instid1(VALU_DEP_3)
	v_add_f32_e32 v0, v0, v1
	v_dual_add_f32 v1, v4, v5 :: v_dual_add_f32 v16, 0, v16
	v_add_f32_e32 v4, v8, v9
	v_add_f32_e32 v5, v12, v13
	s_delay_alu instid0(VALU_DEP_4) | instskip(NEXT) | instid1(VALU_DEP_4)
	v_add_f32_e32 v0, v0, v2
	v_dual_add_f32 v1, v1, v6 :: v_dual_add_f32 v24, 0, v24
	v_add_f32_e32 v8, v16, v17
	v_add_f32_e32 v2, v4, v10
	;; [unrolled: 1-line block ×3, first 2 shown]
	s_delay_alu instid0(VALU_DEP_3)
	v_add_f32_e32 v5, v8, v18
	v_add_f32_e32 v9, v20, v21
	;; [unrolled: 1-line block ×3, first 2 shown]
	v_dual_add_f32 v21, v1, v7 :: v_dual_add_f32 v12, v24, v25
	v_add_f32_e32 v24, v2, v11
	v_add_f32_e32 v25, v4, v15
	;; [unrolled: 1-line block ×3, first 2 shown]
	ds_load_b128 v[0:3], v36 offset:144
	s_waitcnt lgkmcnt(1)
	v_add_f32_e32 v16, 0, v32
	v_add_f32_e32 v28, v5, v19
	;; [unrolled: 1-line block ×5, first 2 shown]
	ds_load_b128 v[4:7], v36 offset:160
	ds_load_b128 v[8:11], v36 offset:176
	;; [unrolled: 1-line block ×3, first 2 shown]
	v_add_f32_e32 v30, v16, v33
	ds_load_b128 v[16:19], v36 offset:208
	s_waitcnt lgkmcnt(4)
	v_add_f32_e32 v0, 0, v0
	s_waitcnt lgkmcnt(3)
	v_add_f32_e32 v4, 0, v4
	;; [unrolled: 2-line block ×3, first 2 shown]
	v_add_f32_e32 v0, v0, v1
	s_waitcnt lgkmcnt(1)
	v_add_f32_e32 v12, 0, v12
	s_waitcnt lgkmcnt(0)
	v_dual_add_f32 v1, 0, v16 :: v_dual_add_f32 v4, v4, v5
	v_add_f32_e32 v5, v8, v9
	v_add_f32_e32 v0, v0, v2
	v_add_f32_e32 v8, v12, v13
	s_delay_alu instid0(VALU_DEP_4) | instskip(NEXT) | instid1(VALU_DEP_4)
	v_dual_add_f32 v1, v1, v17 :: v_dual_add_f32 v2, v4, v6
	v_add_f32_e32 v4, v5, v10
	s_delay_alu instid0(VALU_DEP_4) | instskip(NEXT) | instid1(VALU_DEP_4)
	v_add_f32_e32 v0, v0, v3
	v_add_f32_e32 v5, v8, v14
	s_delay_alu instid0(VALU_DEP_4) | instskip(NEXT) | instid1(VALU_DEP_4)
	v_dual_add_f32 v1, v1, v18 :: v_dual_add_f32 v2, v2, v7
	v_add_f32_e32 v3, v4, v11
	v_add_f32_e32 v22, v22, v23
	s_delay_alu instid0(VALU_DEP_4) | instskip(NEXT) | instid1(VALU_DEP_4)
	v_add_f32_e32 v4, v5, v15
	v_add_f32_e32 v1, v1, v19
	;; [unrolled: 1-line block ×3, first 2 shown]
	v_dual_add_f32 v27, v30, v34 :: v_dual_add_f32 v26, v29, v31
	v_mov_b32_e32 v5, 0x3000
	s_clause 0x7
	global_store_b32 v36, v20, s[0:1]
	global_store_b32 v36, v21, s[0:1] offset:1024
	global_store_b32 v36, v24, s[0:1] offset:2048
	;; [unrolled: 1-line block ×3, first 2 shown]
	global_store_b32 v37, v28, s[0:1]
	global_store_b32 v37, v22, s[0:1] offset:1024
	global_store_b32 v37, v23, s[0:1] offset:2048
	;; [unrolled: 1-line block ×3, first 2 shown]
	v_dual_mov_b32 v21, 0x2000 :: v_dual_add_f32 v20, v27, v35
	s_clause 0x5
	global_store_b32 v21, v20, s[0:1]
	global_store_b32 v21, v0, s[0:1] offset:1024
	global_store_b32 v21, v2, s[0:1] offset:2048
	;; [unrolled: 1-line block ×3, first 2 shown]
	global_store_b32 v5, v4, s[0:1]
	global_store_b32 v5, v1, s[0:1] offset:1024
.LBB45_32:
	s_nop 0
	s_sendmsg sendmsg(MSG_DEALLOC_VGPRS)
	s_endpgm
	.section	.rodata,"a",@progbits
	.p2align	6, 0x0
	.amdhsa_kernel _Z23fp32_router_gemm_kernelI14__hip_bfloat16Li128ELi14ELi256ELi3072EEvPfPKT_PKf
		.amdhsa_group_segment_fixed_size 224
		.amdhsa_private_segment_fixed_size 0
		.amdhsa_kernarg_size 24
		.amdhsa_user_sgpr_count 15
		.amdhsa_user_sgpr_dispatch_ptr 0
		.amdhsa_user_sgpr_queue_ptr 0
		.amdhsa_user_sgpr_kernarg_segment_ptr 1
		.amdhsa_user_sgpr_dispatch_id 0
		.amdhsa_user_sgpr_private_segment_size 0
		.amdhsa_wavefront_size32 1
		.amdhsa_uses_dynamic_stack 0
		.amdhsa_enable_private_segment 0
		.amdhsa_system_sgpr_workgroup_id_x 1
		.amdhsa_system_sgpr_workgroup_id_y 0
		.amdhsa_system_sgpr_workgroup_id_z 0
		.amdhsa_system_sgpr_workgroup_info 0
		.amdhsa_system_vgpr_workitem_id 0
		.amdhsa_next_free_vgpr 136
		.amdhsa_next_free_sgpr 16
		.amdhsa_reserve_vcc 1
		.amdhsa_float_round_mode_32 0
		.amdhsa_float_round_mode_16_64 0
		.amdhsa_float_denorm_mode_32 3
		.amdhsa_float_denorm_mode_16_64 3
		.amdhsa_dx10_clamp 1
		.amdhsa_ieee_mode 1
		.amdhsa_fp16_overflow 0
		.amdhsa_workgroup_processor_mode 1
		.amdhsa_memory_ordered 1
		.amdhsa_forward_progress 0
		.amdhsa_shared_vgpr_count 0
		.amdhsa_exception_fp_ieee_invalid_op 0
		.amdhsa_exception_fp_denorm_src 0
		.amdhsa_exception_fp_ieee_div_zero 0
		.amdhsa_exception_fp_ieee_overflow 0
		.amdhsa_exception_fp_ieee_underflow 0
		.amdhsa_exception_fp_ieee_inexact 0
		.amdhsa_exception_int_div_zero 0
	.end_amdhsa_kernel
	.section	.text._Z23fp32_router_gemm_kernelI14__hip_bfloat16Li128ELi14ELi256ELi3072EEvPfPKT_PKf,"axG",@progbits,_Z23fp32_router_gemm_kernelI14__hip_bfloat16Li128ELi14ELi256ELi3072EEvPfPKT_PKf,comdat
.Lfunc_end45:
	.size	_Z23fp32_router_gemm_kernelI14__hip_bfloat16Li128ELi14ELi256ELi3072EEvPfPKT_PKf, .Lfunc_end45-_Z23fp32_router_gemm_kernelI14__hip_bfloat16Li128ELi14ELi256ELi3072EEvPfPKT_PKf
                                        ; -- End function
	.section	.AMDGPU.csdata,"",@progbits
; Kernel info:
; codeLenInByte = 3940
; NumSgprs: 18
; NumVgprs: 136
; ScratchSize: 0
; MemoryBound: 0
; FloatMode: 240
; IeeeMode: 1
; LDSByteSize: 224 bytes/workgroup (compile time only)
; SGPRBlocks: 2
; VGPRBlocks: 16
; NumSGPRsForWavesPerEU: 18
; NumVGPRsForWavesPerEU: 136
; Occupancy: 10
; WaveLimiterHint : 1
; COMPUTE_PGM_RSRC2:SCRATCH_EN: 0
; COMPUTE_PGM_RSRC2:USER_SGPR: 15
; COMPUTE_PGM_RSRC2:TRAP_HANDLER: 0
; COMPUTE_PGM_RSRC2:TGID_X_EN: 1
; COMPUTE_PGM_RSRC2:TGID_Y_EN: 0
; COMPUTE_PGM_RSRC2:TGID_Z_EN: 0
; COMPUTE_PGM_RSRC2:TIDIG_COMP_CNT: 0
	.section	.text._Z23fp32_router_gemm_kernelI14__hip_bfloat16Li128ELi15ELi256ELi3072EEvPfPKT_PKf,"axG",@progbits,_Z23fp32_router_gemm_kernelI14__hip_bfloat16Li128ELi15ELi256ELi3072EEvPfPKT_PKf,comdat
	.protected	_Z23fp32_router_gemm_kernelI14__hip_bfloat16Li128ELi15ELi256ELi3072EEvPfPKT_PKf ; -- Begin function _Z23fp32_router_gemm_kernelI14__hip_bfloat16Li128ELi15ELi256ELi3072EEvPfPKT_PKf
	.globl	_Z23fp32_router_gemm_kernelI14__hip_bfloat16Li128ELi15ELi256ELi3072EEvPfPKT_PKf
	.p2align	8
	.type	_Z23fp32_router_gemm_kernelI14__hip_bfloat16Li128ELi15ELi256ELi3072EEvPfPKT_PKf,@function
_Z23fp32_router_gemm_kernelI14__hip_bfloat16Li128ELi15ELi256ELi3072EEvPfPKT_PKf: ; @_Z23fp32_router_gemm_kernelI14__hip_bfloat16Li128ELi15ELi256ELi3072EEvPfPKT_PKf
; %bb.0:
	s_clause 0x1
	s_load_b64 s[8:9], s[0:1], 0x10
	s_load_b128 s[0:3], s[0:1], 0x0
	v_dual_mov_b32 v21, 0 :: v_dual_lshlrev_b32 v22, 3, v0
	s_mul_i32 s6, s15, 0xc00
	v_dual_mov_b32 v20, 0 :: v_dual_mov_b32 v19, 0
	s_ashr_i32 s7, s6, 31
	s_delay_alu instid0(VALU_DEP_2)
	v_or_b32_e32 v23, 0x400, v22
	s_lshl_b64 s[6:7], s[6:7], 2
	v_or_b32_e32 v24, 0x800, v22
	v_dual_mov_b32 v18, 0 :: v_dual_mov_b32 v17, 0
	v_dual_mov_b32 v16, 0 :: v_dual_mov_b32 v15, 0
	;; [unrolled: 1-line block ×6, first 2 shown]
	s_waitcnt lgkmcnt(0)
	s_add_u32 s6, s8, s6
	s_mov_b32 s4, s15
	s_addc_u32 s7, s9, s7
	s_mov_b64 s[8:9], 0
.LBB46_1:                               ; =>This Inner Loop Header: Depth=1
	s_delay_alu instid0(SALU_CYCLE_1)
	s_cmp_eq_u32 s8, 1
	s_cselect_b32 vcc_lo, -1, 0
	s_cmp_eq_u32 s8, 2
	v_cndmask_b32_e32 v1, v22, v23, vcc_lo
	s_cselect_b32 vcc_lo, -1, 0
	s_add_u32 s8, s8, 1
	s_addc_u32 s9, s9, 0
	s_cmp_eq_u32 s8, 3
	v_cndmask_b32_e32 v25, v1, v24, vcc_lo
	s_delay_alu instid0(VALU_DEP_1) | instskip(NEXT) | instid1(VALU_DEP_1)
	v_lshlrev_b32_e32 v1, 1, v25
	v_add_co_u32 v26, s5, s2, v1
	s_delay_alu instid0(VALU_DEP_1)
	v_add_co_ci_u32_e64 v27, null, s3, 0, s5
	global_load_b128 v[1:4], v1, s[2:3]
	v_add_co_u32 v5, vcc_lo, 0x1000, v26
	v_add_co_ci_u32_e32 v6, vcc_lo, 0, v27, vcc_lo
	v_add_co_u32 v30, vcc_lo, 0x3000, v26
	v_add_co_ci_u32_e32 v31, vcc_lo, 0, v27, vcc_lo
	;; [unrolled: 2-line block ×14, first 2 shown]
	s_clause 0xd
	global_load_b128 v[26:29], v[5:6], off offset:2048
	global_load_b128 v[30:33], v[30:31], off
	global_load_b128 v[34:37], v[34:35], off offset:2048
	global_load_b128 v[38:41], v[38:39], off
	;; [unrolled: 2-line block ×7, first 2 shown]
	s_waitcnt vmcnt(14)
	v_and_b32_e32 v6, 0xffff0000, v1
	v_lshlrev_b32_e32 v25, 2, v25
	v_lshlrev_b32_e32 v82, 16, v2
	;; [unrolled: 1-line block ×3, first 2 shown]
	s_waitcnt vmcnt(13)
	v_lshlrev_b32_e32 v90, 16, v27
	s_waitcnt vmcnt(5)
	v_lshlrev_b32_e32 v123, 16, v58
	v_and_b32_e32 v93, 0xffff0000, v28
	s_waitcnt vmcnt(1)
	v_lshlrev_b32_e32 v139, 16, v74
	v_lshlrev_b32_e32 v95, 16, v30
	;; [unrolled: 1-line block ×5, first 2 shown]
	s_waitcnt vmcnt(0)
	v_lshlrev_b32_e32 v144, 16, v79
	v_lshlrev_b32_e32 v116, 16, v51
	;; [unrolled: 1-line block ×4, first 2 shown]
	v_and_b32_e32 v38, 0xffff0000, v38
	v_lshlrev_b32_e32 v100, 16, v35
	v_lshlrev_b32_e32 v99, 16, v34
	v_and_b32_e32 v83, 0xffff0000, v2
	v_lshlrev_b32_e32 v145, 16, v80
	v_and_b32_e32 v80, 0xffff0000, v80
	v_lshlrev_b32_e32 v140, 16, v75
	v_lshlrev_b32_e32 v107, 16, v42
	v_and_b32_e32 v87, 0xffff0000, v4
	v_and_b32_e32 v42, 0xffff0000, v42
	;; [unrolled: 1-line block ×4, first 2 shown]
	v_lshlrev_b32_e32 v115, 16, v50
	v_and_b32_e32 v89, 0xffff0000, v26
	v_and_b32_e32 v85, 0xffff0000, v3
	s_clause 0x1
	global_load_b128 v[1:4], v25, s[6:7]
	global_load_b128 v[25:28], v25, s[6:7] offset:16
	v_lshlrev_b32_e32 v142, 16, v77
	v_and_b32_e32 v77, 0xffff0000, v77
	v_lshlrev_b32_e32 v143, 16, v78
	v_and_b32_e32 v34, 0xffff0000, v34
	v_and_b32_e32 v78, 0xffff0000, v78
	;; [unrolled: 1-line block ×4, first 2 shown]
	v_lshlrev_b32_e32 v135, 16, v70
	v_lshlrev_b32_e32 v98, 16, v33
	v_and_b32_e32 v70, 0xffff0000, v70
	v_lshlrev_b32_e32 v119, 16, v54
	v_lshlrev_b32_e32 v136, 16, v71
	v_and_b32_e32 v30, 0xffff0000, v30
	v_lshlrev_b32_e32 v141, 16, v76
	v_lshlrev_b32_e32 v137, 16, v72
	;; [unrolled: 1-line block ×3, first 2 shown]
	v_and_b32_e32 v81, 0xffff0000, v81
	s_waitcnt vmcnt(1)
	v_fmac_f32_e32 v7, v1, v143
	v_lshlrev_b32_e32 v108, 16, v43
	v_fmac_f32_e32 v8, v1, v139
	v_and_b32_e32 v35, 0xffff0000, v35
	v_fmac_f32_e32 v19, v1, v95
	v_dual_fmac_f32 v7, v2, v78 :: v_dual_fmac_f32 v20, v1, v88
	s_delay_alu instid0(VALU_DEP_4) | instskip(SKIP_1) | instid1(VALU_DEP_3)
	v_dual_fmac_f32 v8, v2, v74 :: v_dual_fmac_f32 v21, v1, v5
	v_fmac_f32_e32 v9, v1, v135
	v_dual_fmac_f32 v7, v3, v144 :: v_dual_and_b32 v58, 0xffff0000, v58
	s_delay_alu instid0(VALU_DEP_3) | instskip(NEXT) | instid1(VALU_DEP_3)
	v_dual_fmac_f32 v21, v2, v6 :: v_dual_lshlrev_b32 v106, 16, v41
	v_fmac_f32_e32 v9, v2, v70
	s_delay_alu instid0(VALU_DEP_3)
	v_fmac_f32_e32 v7, v4, v79
	v_lshlrev_b32_e32 v132, 16, v67
	v_and_b32_e32 v50, 0xffff0000, v50
	v_fmac_f32_e32 v21, v3, v82
	v_fmac_f32_e32 v9, v3, v136
	s_waitcnt vmcnt(0)
	v_fmac_f32_e32 v7, v25, v145
	v_fmac_f32_e32 v18, v1, v99
	;; [unrolled: 1-line block ×3, first 2 shown]
	v_dual_fmac_f32 v19, v2, v30 :: v_dual_lshlrev_b32 v96, 16, v31
	s_delay_alu instid0(VALU_DEP_4) | instskip(SKIP_2) | instid1(VALU_DEP_4)
	v_fmac_f32_e32 v7, v26, v80
	v_dual_fmac_f32 v8, v3, v140 :: v_dual_fmac_f32 v21, v4, v83
	v_fmac_f32_e32 v18, v2, v34
	v_dual_fmac_f32 v16, v1, v107 :: v_dual_fmac_f32 v19, v3, v96
	s_delay_alu instid0(VALU_DEP_3) | instskip(SKIP_4) | instid1(VALU_DEP_4)
	v_fmac_f32_e32 v8, v4, v75
	v_fmac_f32_e32 v14, v1, v115
	v_dual_fmac_f32 v20, v2, v89 :: v_dual_and_b32 v31, 0xffff0000, v31
	v_lshlrev_b32_e32 v101, 16, v36
	v_and_b32_e32 v36, 0xffff0000, v36
	v_dual_fmac_f32 v14, v2, v50 :: v_dual_fmac_f32 v21, v25, v84
	s_delay_alu instid0(VALU_DEP_4) | instskip(SKIP_1) | instid1(VALU_DEP_3)
	v_fmac_f32_e32 v20, v3, v90
	v_dual_fmac_f32 v16, v2, v42 :: v_dual_lshlrev_b32 v105, 16, v40
	v_dual_fmac_f32 v14, v3, v116 :: v_dual_fmac_f32 v17, v1, v103
	s_delay_alu instid0(VALU_DEP_3) | instskip(SKIP_2) | instid1(VALU_DEP_3)
	v_dual_fmac_f32 v20, v4, v91 :: v_dual_fmac_f32 v21, v26, v85
	v_lshlrev_b32_e32 v120, 16, v55
	v_and_b32_e32 v43, 0xffff0000, v43
	v_dual_fmac_f32 v17, v2, v38 :: v_dual_fmac_f32 v20, v25, v92
	v_fmac_f32_e32 v18, v3, v100
	v_lshlrev_b32_e32 v109, 16, v44
	v_dual_fmac_f32 v21, v27, v86 :: v_dual_and_b32 v44, 0xffff0000, v44
	v_lshlrev_b32_e32 v126, 16, v61
	v_dual_fmac_f32 v12, v1, v123 :: v_dual_lshlrev_b32 v97, 16, v32
	v_fmac_f32_e32 v18, v4, v35
	s_delay_alu instid0(VALU_DEP_4)
	v_fmac_f32_e32 v21, v28, v87
	v_lshlrev_b32_e32 v133, 16, v68
	v_and_b32_e32 v68, 0xffff0000, v68
	v_lshlrev_b32_e32 v127, 16, v62
	v_and_b32_e32 v32, 0xffff0000, v32
	v_and_b32_e32 v51, 0xffff0000, v51
	;; [unrolled: 1-line block ×3, first 2 shown]
	v_lshlrev_b32_e32 v111, 16, v46
	v_dual_fmac_f32 v11, v1, v127 :: v_dual_and_b32 v40, 0xffff0000, v40
	v_dual_fmac_f32 v8, v25, v141 :: v_dual_lshlrev_b32 v121, 16, v56
	s_delay_alu instid0(VALU_DEP_2)
	v_dual_fmac_f32 v11, v2, v62 :: v_dual_lshlrev_b32 v128, 16, v63
	v_lshlrev_b32_e32 v114, 16, v49
	v_and_b32_e32 v76, 0xffff0000, v76
	v_fmac_f32_e32 v14, v4, v51
	v_dual_fmac_f32 v15, v1, v111 :: v_dual_lshlrev_b32 v94, 16, v29
	v_dual_fmac_f32 v20, v26, v93 :: v_dual_lshlrev_b32 v125, 16, v60
	s_delay_alu instid0(VALU_DEP_4) | instskip(NEXT) | instid1(VALU_DEP_2)
	v_dual_fmac_f32 v8, v26, v76 :: v_dual_and_b32 v63, 0xffff0000, v63
	v_dual_fmac_f32 v20, v27, v94 :: v_dual_and_b32 v71, 0xffff0000, v71
	v_lshlrev_b32_e32 v131, 16, v66
	s_delay_alu instid0(VALU_DEP_3) | instskip(NEXT) | instid1(VALU_DEP_3)
	v_dual_fmac_f32 v8, v27, v142 :: v_dual_and_b32 v29, 0xffff0000, v29
	v_dual_fmac_f32 v9, v4, v71 :: v_dual_lshlrev_b32 v122, 16, v57
	v_and_b32_e32 v66, 0xffff0000, v66
	s_delay_alu instid0(VALU_DEP_4) | instskip(SKIP_1) | instid1(VALU_DEP_4)
	v_fmac_f32_e32 v10, v1, v131
	v_dual_fmac_f32 v12, v2, v58 :: v_dual_and_b32 v67, 0xffff0000, v67
	v_fmac_f32_e32 v9, v25, v137
	s_delay_alu instid0(VALU_DEP_3) | instskip(SKIP_3) | instid1(VALU_DEP_4)
	v_dual_fmac_f32 v10, v2, v66 :: v_dual_and_b32 v33, 0xffff0000, v33
	v_and_b32_e32 v41, 0xffff0000, v41
	v_lshlrev_b32_e32 v124, 16, v59
	v_dual_fmac_f32 v16, v3, v108 :: v_dual_and_b32 v59, 0xffff0000, v59
	v_dual_fmac_f32 v10, v3, v132 :: v_dual_and_b32 v49, 0xffff0000, v49
	s_delay_alu instid0(VALU_DEP_3) | instskip(SKIP_2) | instid1(VALU_DEP_4)
	v_fmac_f32_e32 v12, v3, v124
	v_lshlrev_b32_e32 v113, 16, v48
	v_dual_fmac_f32 v19, v4, v31 :: v_dual_and_b32 v48, 0xffff0000, v48
	v_fmac_f32_e32 v10, v4, v67
	v_and_b32_e32 v55, 0xffff0000, v55
	v_dual_fmac_f32 v12, v4, v59 :: v_dual_lshlrev_b32 v117, 16, v52
	v_fmac_f32_e32 v18, v25, v101
	s_delay_alu instid0(VALU_DEP_4) | instskip(SKIP_4) | instid1(VALU_DEP_4)
	v_fmac_f32_e32 v10, v25, v133
	v_and_b32_e32 v54, 0xffff0000, v54
	v_lshlrev_b32_e32 v104, 16, v39
	v_and_b32_e32 v39, 0xffff0000, v39
	v_dual_fmac_f32 v16, v4, v43 :: v_dual_fmac_f32 v19, v25, v97
	v_dual_fmac_f32 v13, v2, v54 :: v_dual_lshlrev_b32 v112, 16, v47
	s_delay_alu instid0(VALU_DEP_4) | instskip(SKIP_1) | instid1(VALU_DEP_3)
	v_dual_fmac_f32 v17, v3, v104 :: v_dual_lshlrev_b32 v110, 16, v45
	v_and_b32_e32 v47, 0xffff0000, v47
	v_dual_fmac_f32 v13, v3, v120 :: v_dual_and_b32 v46, 0xffff0000, v46
	v_lshlrev_b32_e32 v102, 16, v37
	v_and_b32_e32 v37, 0xffff0000, v37
	v_dual_fmac_f32 v17, v4, v39 :: v_dual_and_b32 v52, 0xffff0000, v52
	s_delay_alu instid0(VALU_DEP_4) | instskip(SKIP_2) | instid1(VALU_DEP_4)
	v_fmac_f32_e32 v15, v2, v46
	v_fmac_f32_e32 v13, v4, v55
	v_and_b32_e32 v45, 0xffff0000, v45
	v_dual_fmac_f32 v17, v25, v105 :: v_dual_and_b32 v60, 0xffff0000, v60
	s_delay_alu instid0(VALU_DEP_4) | instskip(NEXT) | instid1(VALU_DEP_4)
	v_fmac_f32_e32 v15, v3, v112
	v_fmac_f32_e32 v13, v25, v121
	v_dual_fmac_f32 v11, v3, v128 :: v_dual_lshlrev_b32 v118, 16, v53
	v_dual_fmac_f32 v18, v26, v36 :: v_dual_and_b32 v53, 0xffff0000, v53
	s_delay_alu instid0(VALU_DEP_2) | instskip(SKIP_1) | instid1(VALU_DEP_3)
	v_dual_fmac_f32 v11, v4, v63 :: v_dual_and_b32 v56, 0xffff0000, v56
	v_lshlrev_b32_e32 v129, 16, v64
	v_dual_fmac_f32 v15, v4, v47 :: v_dual_fmac_f32 v18, v27, v102
	v_and_b32_e32 v64, 0xffff0000, v64
	v_dual_fmac_f32 v19, v26, v32 :: v_dual_lshlrev_b32 v130, 16, v65
	v_dual_fmac_f32 v17, v26, v40 :: v_dual_lshlrev_b32 v134, 16, v69
	v_and_b32_e32 v72, 0xffff0000, v72
	v_fmac_f32_e32 v16, v25, v109
	v_fmac_f32_e32 v15, v25, v113
	s_delay_alu instid0(VALU_DEP_4) | instskip(SKIP_3) | instid1(VALU_DEP_4)
	v_dual_fmac_f32 v12, v25, v125 :: v_dual_fmac_f32 v17, v27, v106
	v_fmac_f32_e32 v14, v25, v117
	v_fmac_f32_e32 v11, v25, v129
	v_dual_fmac_f32 v16, v26, v44 :: v_dual_and_b32 v57, 0xffff0000, v57
	v_dual_fmac_f32 v12, v26, v60 :: v_dual_and_b32 v61, 0xffff0000, v61
	s_delay_alu instid0(VALU_DEP_3)
	v_dual_fmac_f32 v11, v26, v64 :: v_dual_lshlrev_b32 v138, 16, v73
	v_fmac_f32_e32 v15, v26, v48
	v_fmac_f32_e32 v14, v26, v52
	v_fmac_f32_e32 v13, v26, v56
	v_fmac_f32_e32 v9, v26, v72
	v_dual_fmac_f32 v19, v27, v98 :: v_dual_fmac_f32 v10, v26, v68
	v_dual_fmac_f32 v16, v27, v110 :: v_dual_and_b32 v65, 0xffff0000, v65
	v_and_b32_e32 v69, 0xffff0000, v69
	s_delay_alu instid0(VALU_DEP_3)
	v_dual_fmac_f32 v10, v27, v134 :: v_dual_and_b32 v73, 0xffff0000, v73
	v_fmac_f32_e32 v15, v27, v114
	v_fmac_f32_e32 v14, v27, v118
	v_fmac_f32_e32 v13, v27, v122
	v_fmac_f32_e32 v12, v27, v126
	v_fmac_f32_e32 v11, v27, v130
	v_fmac_f32_e32 v9, v27, v138
	v_dual_fmac_f32 v7, v27, v146 :: v_dual_fmac_f32 v20, v28, v29
	v_fmac_f32_e32 v19, v28, v33
	v_fmac_f32_e32 v18, v28, v37
	;; [unrolled: 1-line block ×13, first 2 shown]
	s_cbranch_scc0 .LBB46_1
; %bb.2:
	v_mbcnt_lo_u32_b32 v5, -1, 0
	v_lshrrev_b32_e32 v23, 5, v0
	s_delay_alu instid0(VALU_DEP_2) | instskip(SKIP_1) | instid1(VALU_DEP_2)
	v_xor_b32_e32 v1, 16, v5
	v_xor_b32_e32 v2, 8, v5
	v_cmp_gt_i32_e32 vcc_lo, 32, v1
	v_cndmask_b32_e32 v1, v5, v1, vcc_lo
	s_delay_alu instid0(VALU_DEP_3) | instskip(SKIP_1) | instid1(VALU_DEP_1)
	v_cmp_gt_i32_e32 vcc_lo, 32, v2
	v_cndmask_b32_e32 v2, v5, v2, vcc_lo
	v_lshlrev_b32_e32 v2, 2, v2
	s_delay_alu instid0(VALU_DEP_4)
	v_lshlrev_b32_e32 v1, 2, v1
	ds_bpermute_b32 v3, v1, v21
	s_waitcnt lgkmcnt(0)
	v_add_f32_e32 v4, v21, v3
	v_xor_b32_e32 v3, 4, v5
	ds_bpermute_b32 v6, v2, v4
	v_cmp_gt_i32_e32 vcc_lo, 32, v3
	s_waitcnt lgkmcnt(0)
	v_dual_cndmask_b32 v3, v5, v3 :: v_dual_add_f32 v6, v4, v6
	s_delay_alu instid0(VALU_DEP_1)
	v_lshlrev_b32_e32 v3, 2, v3
	v_xor_b32_e32 v4, 2, v5
	ds_bpermute_b32 v21, v3, v6
	v_cmp_gt_i32_e32 vcc_lo, 32, v4
	s_waitcnt lgkmcnt(0)
	v_dual_cndmask_b32 v4, v5, v4 :: v_dual_add_f32 v21, v6, v21
	v_xor_b32_e32 v6, 1, v5
	s_delay_alu instid0(VALU_DEP_1) | instskip(NEXT) | instid1(VALU_DEP_3)
	v_cmp_gt_i32_e32 vcc_lo, 32, v6
	v_dual_cndmask_b32 v5, v5, v6 :: v_dual_lshlrev_b32 v4, 2, v4
	ds_bpermute_b32 v22, v4, v21
	v_lshlrev_b32_e32 v6, 2, v5
	v_and_b32_e32 v5, 31, v0
	s_delay_alu instid0(VALU_DEP_1)
	v_cmp_eq_u32_e32 vcc_lo, 0, v5
	v_lshlrev_b32_e32 v5, 2, v23
	s_waitcnt lgkmcnt(0)
	v_add_f32_e32 v21, v21, v22
	ds_bpermute_b32 v22, v6, v21
	s_and_saveexec_b32 s2, vcc_lo
	s_cbranch_execz .LBB46_4
; %bb.3:
	s_waitcnt lgkmcnt(0)
	v_add_f32_e32 v21, v21, v22
	ds_store_b32 v5, v21
.LBB46_4:
	s_or_b32 exec_lo, exec_lo, s2
	ds_bpermute_b32 v21, v1, v20
	s_waitcnt lgkmcnt(0)
	v_add_f32_e32 v20, v20, v21
	ds_bpermute_b32 v21, v2, v20
	s_waitcnt lgkmcnt(0)
	v_add_f32_e32 v20, v20, v21
	ds_bpermute_b32 v21, v3, v20
	s_waitcnt lgkmcnt(0)
	v_add_f32_e32 v20, v20, v21
	ds_bpermute_b32 v21, v4, v20
	s_waitcnt lgkmcnt(0)
	v_add_f32_e32 v20, v20, v21
	ds_bpermute_b32 v21, v6, v20
	s_and_saveexec_b32 s2, vcc_lo
	s_cbranch_execz .LBB46_6
; %bb.5:
	s_waitcnt lgkmcnt(0)
	v_add_f32_e32 v20, v20, v21
	ds_store_b32 v5, v20 offset:16
.LBB46_6:
	s_or_b32 exec_lo, exec_lo, s2
	ds_bpermute_b32 v20, v1, v19
	s_waitcnt lgkmcnt(0)
	v_add_f32_e32 v19, v19, v20
	ds_bpermute_b32 v20, v2, v19
	s_waitcnt lgkmcnt(0)
	v_add_f32_e32 v19, v19, v20
	ds_bpermute_b32 v20, v3, v19
	s_waitcnt lgkmcnt(0)
	v_add_f32_e32 v19, v19, v20
	ds_bpermute_b32 v20, v4, v19
	s_waitcnt lgkmcnt(0)
	v_add_f32_e32 v19, v19, v20
	ds_bpermute_b32 v20, v6, v19
	s_and_saveexec_b32 s2, vcc_lo
	s_cbranch_execz .LBB46_8
; %bb.7:
	s_waitcnt lgkmcnt(0)
	v_add_f32_e32 v19, v19, v20
	ds_store_b32 v5, v19 offset:32
.LBB46_8:
	;; [unrolled: 21-line block ×14, first 2 shown]
	s_or_b32 exec_lo, exec_lo, s2
	s_waitcnt lgkmcnt(0)
	s_barrier
	buffer_gl0_inv
	s_mov_b32 s2, exec_lo
	v_cmpx_eq_u32_e32 0, v0
	s_cbranch_execz .LBB46_34
; %bb.33:
	v_mov_b32_e32 v40, 0
	s_ashr_i32 s5, s4, 31
	ds_load_b128 v[0:3], v40
	ds_load_b128 v[4:7], v40 offset:16
	ds_load_b128 v[8:11], v40 offset:32
	;; [unrolled: 1-line block ×7, first 2 shown]
	s_lshl_b64 s[2:3], s[4:5], 2
	s_delay_alu instid0(SALU_CYCLE_1)
	s_add_u32 s0, s0, s2
	s_addc_u32 s1, s1, s3
	s_waitcnt lgkmcnt(4)
	v_add_f32_e32 v12, 0, v12
	v_add_f32_e32 v0, 0, v0
	s_waitcnt lgkmcnt(2)
	v_add_f32_e32 v20, 0, v20
	v_add_f32_e32 v4, 0, v4
	s_delay_alu instid0(VALU_DEP_3) | instskip(NEXT) | instid1(VALU_DEP_2)
	v_add_f32_e32 v0, v0, v1
	v_dual_add_f32 v1, v4, v5 :: v_dual_add_f32 v8, 0, v8
	ds_load_b128 v[32:35], v40 offset:128
	ds_load_b128 v[36:39], v40 offset:144
	v_add_f32_e32 v5, v12, v13
	v_add_f32_e32 v0, v0, v2
	v_dual_add_f32 v1, v1, v6 :: v_dual_add_f32 v4, v8, v9
	v_dual_add_f32 v9, v20, v21 :: v_dual_add_f32 v16, 0, v16
	s_delay_alu instid0(VALU_DEP_3) | instskip(NEXT) | instid1(VALU_DEP_3)
	v_add_f32_e32 v20, v0, v3
	v_dual_add_f32 v21, v1, v7 :: v_dual_add_f32 v2, v4, v10
	s_delay_alu instid0(VALU_DEP_3)
	v_add_f32_e32 v6, v9, v22
	s_waitcnt lgkmcnt(3)
	v_add_f32_e32 v24, 0, v24
	v_add_f32_e32 v8, v16, v17
	;; [unrolled: 1-line block ×4, first 2 shown]
	s_delay_alu instid0(VALU_DEP_4) | instskip(NEXT) | instid1(VALU_DEP_4)
	v_dual_add_f32 v23, v6, v23 :: v_dual_add_f32 v12, v24, v25
	v_add_f32_e32 v5, v8, v18
	s_delay_alu instid0(VALU_DEP_4) | instskip(NEXT) | instid1(VALU_DEP_3)
	v_add_f32_e32 v24, v4, v15
	v_add_f32_e32 v0, v12, v26
	s_waitcnt lgkmcnt(2)
	s_delay_alu instid0(VALU_DEP_3)
	v_dual_add_f32 v28, 0, v28 :: v_dual_add_f32 v25, v5, v19
	s_waitcnt lgkmcnt(1)
	v_add_f32_e32 v5, 0, v32
	s_waitcnt lgkmcnt(0)
	v_dual_add_f32 v12, 0, v36 :: v_dual_add_f32 v27, v0, v27
	v_add_f32_e32 v4, v28, v29
	ds_load_b128 v[0:3], v40 offset:160
	v_dual_add_f32 v29, v5, v33 :: v_dual_mov_b32 v26, 0x1000
	v_add_f32_e32 v28, v4, v30
	ds_load_b128 v[4:7], v40 offset:176
	ds_load_b128 v[8:11], v40 offset:192
	v_add_f32_e32 v30, v12, v37
	ds_load_b128 v[12:15], v40 offset:208
	ds_load_b128 v[16:19], v40 offset:224
	v_dual_add_f32 v29, v29, v34 :: v_dual_add_f32 v28, v28, v31
	v_add_f32_e32 v30, v30, v38
	s_waitcnt lgkmcnt(4)
	v_add_f32_e32 v0, 0, v0
	s_waitcnt lgkmcnt(3)
	;; [unrolled: 2-line block ×4, first 2 shown]
	v_dual_add_f32 v0, v0, v1 :: v_dual_add_f32 v1, 0, v12
	s_waitcnt lgkmcnt(0)
	v_add_f32_e32 v12, 0, v16
	v_add_f32_e32 v4, v4, v5
	;; [unrolled: 1-line block ×3, first 2 shown]
	v_dual_add_f32 v0, v0, v2 :: v_dual_add_f32 v1, v1, v13
	s_delay_alu instid0(VALU_DEP_4) | instskip(NEXT) | instid1(VALU_DEP_4)
	v_add_f32_e32 v2, v12, v17
	v_add_f32_e32 v4, v4, v6
	s_delay_alu instid0(VALU_DEP_3) | instskip(NEXT) | instid1(VALU_DEP_4)
	v_dual_add_f32 v5, v5, v10 :: v_dual_add_f32 v0, v0, v3
	v_add_f32_e32 v1, v1, v14
	s_delay_alu instid0(VALU_DEP_3) | instskip(NEXT) | instid1(VALU_DEP_3)
	v_dual_add_f32 v2, v2, v18 :: v_dual_add_f32 v3, v4, v7
	v_dual_add_f32 v4, v5, v11 :: v_dual_mov_b32 v5, 0x3000
	s_clause 0x7
	global_store_b32 v40, v20, s[0:1]
	global_store_b32 v40, v21, s[0:1] offset:1024
	global_store_b32 v40, v22, s[0:1] offset:2048
	;; [unrolled: 1-line block ×3, first 2 shown]
	global_store_b32 v26, v25, s[0:1]
	global_store_b32 v26, v23, s[0:1] offset:1024
	global_store_b32 v26, v27, s[0:1] offset:2048
	;; [unrolled: 1-line block ×3, first 2 shown]
	v_dual_add_f32 v20, v29, v35 :: v_dual_mov_b32 v21, 0x2000
	v_add_f32_e32 v22, v30, v39
	v_add_f32_e32 v1, v1, v15
	;; [unrolled: 1-line block ×3, first 2 shown]
	s_clause 0x6
	global_store_b32 v21, v20, s[0:1]
	global_store_b32 v21, v22, s[0:1] offset:1024
	global_store_b32 v21, v0, s[0:1] offset:2048
	;; [unrolled: 1-line block ×3, first 2 shown]
	global_store_b32 v5, v4, s[0:1]
	global_store_b32 v5, v1, s[0:1] offset:1024
	global_store_b32 v5, v2, s[0:1] offset:2048
.LBB46_34:
	s_nop 0
	s_sendmsg sendmsg(MSG_DEALLOC_VGPRS)
	s_endpgm
	.section	.rodata,"a",@progbits
	.p2align	6, 0x0
	.amdhsa_kernel _Z23fp32_router_gemm_kernelI14__hip_bfloat16Li128ELi15ELi256ELi3072EEvPfPKT_PKf
		.amdhsa_group_segment_fixed_size 240
		.amdhsa_private_segment_fixed_size 0
		.amdhsa_kernarg_size 24
		.amdhsa_user_sgpr_count 15
		.amdhsa_user_sgpr_dispatch_ptr 0
		.amdhsa_user_sgpr_queue_ptr 0
		.amdhsa_user_sgpr_kernarg_segment_ptr 1
		.amdhsa_user_sgpr_dispatch_id 0
		.amdhsa_user_sgpr_private_segment_size 0
		.amdhsa_wavefront_size32 1
		.amdhsa_uses_dynamic_stack 0
		.amdhsa_enable_private_segment 0
		.amdhsa_system_sgpr_workgroup_id_x 1
		.amdhsa_system_sgpr_workgroup_id_y 0
		.amdhsa_system_sgpr_workgroup_id_z 0
		.amdhsa_system_sgpr_workgroup_info 0
		.amdhsa_system_vgpr_workitem_id 0
		.amdhsa_next_free_vgpr 147
		.amdhsa_next_free_sgpr 16
		.amdhsa_reserve_vcc 1
		.amdhsa_float_round_mode_32 0
		.amdhsa_float_round_mode_16_64 0
		.amdhsa_float_denorm_mode_32 3
		.amdhsa_float_denorm_mode_16_64 3
		.amdhsa_dx10_clamp 1
		.amdhsa_ieee_mode 1
		.amdhsa_fp16_overflow 0
		.amdhsa_workgroup_processor_mode 1
		.amdhsa_memory_ordered 1
		.amdhsa_forward_progress 0
		.amdhsa_shared_vgpr_count 0
		.amdhsa_exception_fp_ieee_invalid_op 0
		.amdhsa_exception_fp_denorm_src 0
		.amdhsa_exception_fp_ieee_div_zero 0
		.amdhsa_exception_fp_ieee_overflow 0
		.amdhsa_exception_fp_ieee_underflow 0
		.amdhsa_exception_fp_ieee_inexact 0
		.amdhsa_exception_int_div_zero 0
	.end_amdhsa_kernel
	.section	.text._Z23fp32_router_gemm_kernelI14__hip_bfloat16Li128ELi15ELi256ELi3072EEvPfPKT_PKf,"axG",@progbits,_Z23fp32_router_gemm_kernelI14__hip_bfloat16Li128ELi15ELi256ELi3072EEvPfPKT_PKf,comdat
.Lfunc_end46:
	.size	_Z23fp32_router_gemm_kernelI14__hip_bfloat16Li128ELi15ELi256ELi3072EEvPfPKT_PKf, .Lfunc_end46-_Z23fp32_router_gemm_kernelI14__hip_bfloat16Li128ELi15ELi256ELi3072EEvPfPKT_PKf
                                        ; -- End function
	.section	.AMDGPU.csdata,"",@progbits
; Kernel info:
; codeLenInByte = 4184
; NumSgprs: 18
; NumVgprs: 147
; ScratchSize: 0
; MemoryBound: 0
; FloatMode: 240
; IeeeMode: 1
; LDSByteSize: 240 bytes/workgroup (compile time only)
; SGPRBlocks: 2
; VGPRBlocks: 18
; NumSGPRsForWavesPerEU: 18
; NumVGPRsForWavesPerEU: 147
; Occupancy: 9
; WaveLimiterHint : 1
; COMPUTE_PGM_RSRC2:SCRATCH_EN: 0
; COMPUTE_PGM_RSRC2:USER_SGPR: 15
; COMPUTE_PGM_RSRC2:TRAP_HANDLER: 0
; COMPUTE_PGM_RSRC2:TGID_X_EN: 1
; COMPUTE_PGM_RSRC2:TGID_Y_EN: 0
; COMPUTE_PGM_RSRC2:TGID_Z_EN: 0
; COMPUTE_PGM_RSRC2:TIDIG_COMP_CNT: 0
	.section	.text._Z23fp32_router_gemm_kernelI14__hip_bfloat16Li128ELi16ELi256ELi3072EEvPfPKT_PKf,"axG",@progbits,_Z23fp32_router_gemm_kernelI14__hip_bfloat16Li128ELi16ELi256ELi3072EEvPfPKT_PKf,comdat
	.protected	_Z23fp32_router_gemm_kernelI14__hip_bfloat16Li128ELi16ELi256ELi3072EEvPfPKT_PKf ; -- Begin function _Z23fp32_router_gemm_kernelI14__hip_bfloat16Li128ELi16ELi256ELi3072EEvPfPKT_PKf
	.globl	_Z23fp32_router_gemm_kernelI14__hip_bfloat16Li128ELi16ELi256ELi3072EEvPfPKT_PKf
	.p2align	8
	.type	_Z23fp32_router_gemm_kernelI14__hip_bfloat16Li128ELi16ELi256ELi3072EEvPfPKT_PKf,@function
_Z23fp32_router_gemm_kernelI14__hip_bfloat16Li128ELi16ELi256ELi3072EEvPfPKT_PKf: ; @_Z23fp32_router_gemm_kernelI14__hip_bfloat16Li128ELi16ELi256ELi3072EEvPfPKT_PKf
; %bb.0:
	s_clause 0x1
	s_load_b128 s[4:7], s[0:1], 0x0
	s_load_b64 s[0:1], s[0:1], 0x10
	v_dual_mov_b32 v16, 0 :: v_dual_lshlrev_b32 v17, 3, v0
	s_mul_i32 s8, s15, 0xc00
	v_dual_mov_b32 v15, 0 :: v_dual_mov_b32 v14, 0
	s_ashr_i32 s9, s8, 31
	s_delay_alu instid0(VALU_DEP_2)
	v_or_b32_e32 v18, 0x400, v17
	s_lshl_b64 s[8:9], s[8:9], 2
	v_or_b32_e32 v19, 0x800, v17
	v_dual_mov_b32 v13, 0 :: v_dual_mov_b32 v12, 0
	v_dual_mov_b32 v11, 0 :: v_dual_mov_b32 v10, 0
	;; [unrolled: 1-line block ×6, first 2 shown]
	v_mov_b32_e32 v1, 0
	s_waitcnt lgkmcnt(0)
	s_add_u32 s0, s0, s8
	s_mov_b32 s2, s15
	s_addc_u32 s1, s1, s9
	s_mov_b64 s[8:9], 0
.LBB47_1:                               ; =>This Inner Loop Header: Depth=1
	s_delay_alu instid0(SALU_CYCLE_1)
	s_cmp_eq_u32 s8, 1
	s_cselect_b32 vcc_lo, -1, 0
	s_cmp_eq_u32 s8, 2
	v_cndmask_b32_e32 v20, v17, v18, vcc_lo
	s_cselect_b32 vcc_lo, -1, 0
	s_add_u32 s8, s8, 1
	s_addc_u32 s9, s9, 0
	s_cmp_eq_u32 s8, 3
	v_cndmask_b32_e32 v20, v20, v19, vcc_lo
	s_delay_alu instid0(VALU_DEP_1) | instskip(SKIP_2) | instid1(VALU_DEP_1)
	v_lshlrev_b32_e32 v90, 2, v20
	global_load_b128 v[26:29], v90, s[0:1]
	v_lshlrev_b32_e32 v21, 1, v20
	v_add_co_u32 v30, s3, s6, v21
	s_delay_alu instid0(VALU_DEP_1)
	v_add_co_ci_u32_e64 v31, null, s7, 0, s3
	global_load_b128 v[22:25], v21, s[6:7]
	v_add_co_u32 v20, vcc_lo, 0x1000, v30
	v_add_co_ci_u32_e32 v21, vcc_lo, 0, v31, vcc_lo
	v_add_co_u32 v34, vcc_lo, 0x3000, v30
	v_add_co_ci_u32_e32 v35, vcc_lo, 0, v31, vcc_lo
	;; [unrolled: 2-line block ×15, first 2 shown]
	s_clause 0xe
	global_load_b128 v[30:33], v[20:21], off offset:2048
	global_load_b128 v[34:37], v[34:35], off
	global_load_b128 v[38:41], v[38:39], off offset:2048
	global_load_b128 v[42:45], v[42:43], off
	;; [unrolled: 2-line block ×7, first 2 shown]
	global_load_b128 v[86:89], v[86:87], off offset:2048
	global_load_b128 v[90:93], v90, s[0:1] offset:16
	s_waitcnt vmcnt(16)
	v_and_b32_e32 v21, 0xffff0000, v22
	s_waitcnt vmcnt(9)
	v_lshlrev_b32_e32 v120, 16, v55
	s_waitcnt vmcnt(8)
	v_lshlrev_b32_e32 v124, 16, v59
	;; [unrolled: 2-line block ×3, first 2 shown]
	v_lshlrev_b32_e32 v101, 16, v36
	s_waitcnt vmcnt(5)
	v_lshlrev_b32_e32 v135, 16, v70
	s_waitcnt vmcnt(3)
	;; [unrolled: 2-line block ×3, first 2 shown]
	v_lshlrev_b32_e32 v148, 16, v83
	v_lshlrev_b32_e32 v119, 16, v54
	;; [unrolled: 1-line block ×4, first 2 shown]
	v_and_b32_e32 v80, 0xffff0000, v80
	v_lshlrev_b32_e32 v136, 16, v71
	v_lshlrev_b32_e32 v149, 16, v84
	v_and_b32_e32 v71, 0xffff0000, v71
	v_dual_fmac_f32 v9, v26, v119 :: v_dual_and_b32 v54, 0xffff0000, v54
	v_and_b32_e32 v36, 0xffff0000, v36
	v_lshlrev_b32_e32 v147, 16, v82
	v_and_b32_e32 v84, 0xffff0000, v84
	v_lshlrev_b32_e32 v143, 16, v78
	v_dual_fmac_f32 v9, v27, v54 :: v_dual_lshlrev_b32 v108, 16, v43
	s_delay_alu instid0(VALU_DEP_4) | instskip(NEXT) | instid1(VALU_DEP_2)
	v_dual_fmac_f32 v2, v26, v147 :: v_dual_lshlrev_b32 v103, 16, v38
	v_dual_fmac_f32 v9, v28, v120 :: v_dual_and_b32 v78, 0xffff0000, v78
	v_lshlrev_b32_e32 v111, 16, v46
	v_lshlrev_b32_e32 v20, 16, v22
	v_dual_fmac_f32 v5, v26, v135 :: v_dual_and_b32 v82, 0xffff0000, v82
	v_fmac_f32_e32 v3, v26, v143
	s_delay_alu instid0(VALU_DEP_4) | instskip(NEXT) | instid1(VALU_DEP_4)
	v_fmac_f32_e32 v11, v26, v111
	v_dual_fmac_f32 v16, v26, v20 :: v_dual_lshlrev_b32 v95, 16, v25
	v_lshlrev_b32_e32 v20, 16, v30
	v_lshlrev_b32_e32 v22, 16, v23
	v_and_b32_e32 v30, 0xffff0000, v30
	s_delay_alu instid0(VALU_DEP_4) | instskip(NEXT) | instid1(VALU_DEP_4)
	v_dual_fmac_f32 v16, v27, v21 :: v_dual_and_b32 v23, 0xffff0000, v23
	v_dual_fmac_f32 v15, v26, v20 :: v_dual_lshlrev_b32 v96, 16, v31
	v_and_b32_e32 v31, 0xffff0000, v31
	v_lshlrev_b32_e32 v144, 16, v79
	s_delay_alu instid0(VALU_DEP_4)
	v_dual_fmac_f32 v16, v28, v22 :: v_dual_lshlrev_b32 v105, 16, v40
	v_dual_fmac_f32 v3, v27, v78 :: v_dual_and_b32 v40, 0xffff0000, v40
	v_lshlrev_b32_e32 v112, 16, v47
	v_dual_fmac_f32 v2, v27, v82 :: v_dual_and_b32 v47, 0xffff0000, v47
	v_and_b32_e32 v83, 0xffff0000, v83
	v_dual_fmac_f32 v16, v29, v23 :: v_dual_lshlrev_b32 v113, 16, v48
	v_fmac_f32_e32 v6, v26, v131
	s_delay_alu instid0(VALU_DEP_4) | instskip(SKIP_1) | instid1(VALU_DEP_3)
	v_dual_fmac_f32 v2, v28, v148 :: v_dual_lshlrev_b32 v127, 16, v62
	s_waitcnt vmcnt(0)
	v_dual_fmac_f32 v16, v90, v94 :: v_dual_and_b32 v59, 0xffff0000, v59
	s_delay_alu instid0(VALU_DEP_2) | instskip(NEXT) | instid1(VALU_DEP_3)
	v_dual_fmac_f32 v2, v29, v83 :: v_dual_lshlrev_b32 v123, 16, v58
	v_dual_fmac_f32 v7, v26, v127 :: v_dual_and_b32 v24, 0xffff0000, v24
	s_delay_alu instid0(VALU_DEP_2) | instskip(NEXT) | instid1(VALU_DEP_2)
	v_dual_fmac_f32 v8, v26, v123 :: v_dual_lshlrev_b32 v99, 16, v34
	v_dual_fmac_f32 v16, v91, v24 :: v_dual_and_b32 v55, 0xffff0000, v55
	s_delay_alu instid0(VALU_DEP_2) | instskip(SKIP_1) | instid1(VALU_DEP_3)
	v_dual_fmac_f32 v14, v26, v99 :: v_dual_and_b32 v25, 0xffff0000, v25
	v_lshlrev_b32_e32 v129, 16, v64
	v_dual_fmac_f32 v15, v27, v30 :: v_dual_fmac_f32 v16, v92, v95
	v_lshlrev_b32_e32 v137, 16, v72
	v_and_b32_e32 v72, 0xffff0000, v72
	v_and_b32_e32 v70, 0xffff0000, v70
	s_delay_alu instid0(VALU_DEP_4) | instskip(SKIP_1) | instid1(VALU_DEP_3)
	v_dual_fmac_f32 v15, v28, v96 :: v_dual_and_b32 v34, 0xffff0000, v34
	v_dual_fmac_f32 v3, v28, v144 :: v_dual_lshlrev_b32 v104, 16, v39
	v_fmac_f32_e32 v5, v27, v70
	v_and_b32_e32 v46, 0xffff0000, v46
	s_delay_alu instid0(VALU_DEP_4) | instskip(SKIP_1) | instid1(VALU_DEP_4)
	v_fmac_f32_e32 v14, v27, v34
	v_and_b32_e32 v38, 0xffff0000, v38
	v_dual_fmac_f32 v5, v28, v136 :: v_dual_and_b32 v58, 0xffff0000, v58
	s_delay_alu instid0(VALU_DEP_4) | instskip(SKIP_3) | instid1(VALU_DEP_4)
	v_dual_fmac_f32 v11, v27, v46 :: v_dual_lshlrev_b32 v100, 16, v35
	v_and_b32_e32 v35, 0xffff0000, v35
	v_lshlrev_b32_e32 v107, 16, v42
	v_and_b32_e32 v42, 0xffff0000, v42
	v_fmac_f32_e32 v14, v28, v100
	v_fmac_f32_e32 v11, v28, v112
	s_delay_alu instid0(VALU_DEP_4) | instskip(SKIP_3) | instid1(VALU_DEP_4)
	v_dual_fmac_f32 v12, v26, v107 :: v_dual_lshlrev_b32 v97, 16, v32
	v_and_b32_e32 v39, 0xffff0000, v39
	v_dual_fmac_f32 v13, v26, v103 :: v_dual_lshlrev_b32 v98, 16, v33
	v_dual_fmac_f32 v8, v27, v58 :: v_dual_and_b32 v43, 0xffff0000, v43
	v_dual_fmac_f32 v12, v27, v42 :: v_dual_lshlrev_b32 v117, 16, v52
	v_fmac_f32_e32 v14, v29, v35
	v_dual_fmac_f32 v9, v29, v55 :: v_dual_and_b32 v52, 0xffff0000, v52
	s_delay_alu instid0(VALU_DEP_3) | instskip(SKIP_3) | instid1(VALU_DEP_4)
	v_dual_fmac_f32 v13, v27, v38 :: v_dual_fmac_f32 v12, v28, v108
	v_lshlrev_b32_e32 v121, 16, v56
	v_fmac_f32_e32 v11, v29, v47
	v_and_b32_e32 v79, 0xffff0000, v79
	v_dual_fmac_f32 v13, v28, v104 :: v_dual_fmac_f32 v12, v29, v43
	s_delay_alu instid0(VALU_DEP_4) | instskip(SKIP_2) | instid1(VALU_DEP_4)
	v_fmac_f32_e32 v9, v90, v121
	v_dual_fmac_f32 v8, v28, v124 :: v_dual_lshlrev_b32 v115, 16, v50
	v_and_b32_e32 v50, 0xffff0000, v50
	v_dual_fmac_f32 v13, v29, v39 :: v_dual_and_b32 v48, 0xffff0000, v48
	v_dual_fmac_f32 v11, v90, v113 :: v_dual_and_b32 v66, 0xffff0000, v66
	v_dual_fmac_f32 v2, v90, v149 :: v_dual_fmac_f32 v5, v29, v71
	s_delay_alu instid0(VALU_DEP_2) | instskip(SKIP_1) | instid1(VALU_DEP_4)
	v_dual_fmac_f32 v16, v93, v25 :: v_dual_fmac_f32 v11, v91, v48
	v_and_b32_e32 v62, 0xffff0000, v62
	v_dual_fmac_f32 v6, v27, v66 :: v_dual_lshlrev_b32 v109, 16, v44
	v_dual_fmac_f32 v3, v29, v79 :: v_dual_and_b32 v56, 0xffff0000, v56
	v_lshlrev_b32_e32 v128, 16, v63
	v_lshlrev_b32_e32 v132, 16, v67
	v_dual_fmac_f32 v14, v90, v101 :: v_dual_lshlrev_b32 v151, 16, v86
	v_fmac_f32_e32 v5, v90, v137
	v_dual_fmac_f32 v7, v27, v62 :: v_dual_lshlrev_b32 v102, 16, v37
	s_delay_alu instid0(VALU_DEP_3)
	v_dual_fmac_f32 v1, v26, v151 :: v_dual_and_b32 v32, 0xffff0000, v32
	v_dual_fmac_f32 v15, v29, v31 :: v_dual_and_b32 v44, 0xffff0000, v44
	v_lshlrev_b32_e32 v116, 16, v51
	v_dual_fmac_f32 v12, v90, v109 :: v_dual_and_b32 v63, 0xffff0000, v63
	v_fmac_f32_e32 v8, v29, v59
	v_and_b32_e32 v67, 0xffff0000, v67
	v_fmac_f32_e32 v13, v90, v105
	v_lshlrev_b32_e32 v130, 16, v65
	v_dual_fmac_f32 v14, v91, v36 :: v_dual_and_b32 v65, 0xffff0000, v65
	v_dual_fmac_f32 v3, v90, v145 :: v_dual_and_b32 v86, 0xffff0000, v86
	v_dual_fmac_f32 v7, v28, v128 :: v_dual_lshlrev_b32 v110, 16, v45
	v_fmac_f32_e32 v9, v91, v56
	v_dual_fmac_f32 v6, v28, v132 :: v_dual_and_b32 v51, 0xffff0000, v51
	v_lshlrev_b32_e32 v125, 16, v60
	v_dual_fmac_f32 v1, v27, v86 :: v_dual_lshlrev_b32 v106, 16, v41
	v_dual_fmac_f32 v7, v29, v63 :: v_dual_lshlrev_b32 v118, 16, v53
	v_and_b32_e32 v60, 0xffff0000, v60
	v_lshlrev_b32_e32 v152, 16, v87
	v_fmac_f32_e32 v6, v29, v67
	v_fmac_f32_e32 v8, v90, v125
	v_lshlrev_b32_e32 v114, 16, v49
	v_and_b32_e32 v87, 0xffff0000, v87
	v_fmac_f32_e32 v1, v28, v152
	v_fmac_f32_e32 v15, v90, v97
	v_lshlrev_b32_e32 v126, 16, v61
	v_fmac_f32_e32 v7, v90, v129
	v_dual_fmac_f32 v8, v91, v60 :: v_dual_lshlrev_b32 v139, 16, v74
	v_dual_fmac_f32 v1, v29, v87 :: v_dual_lshlrev_b32 v122, 16, v57
	v_fmac_f32_e32 v15, v91, v32
	s_delay_alu instid0(VALU_DEP_3) | instskip(SKIP_4) | instid1(VALU_DEP_4)
	v_dual_fmac_f32 v8, v92, v126 :: v_dual_and_b32 v81, 0xffff0000, v81
	v_lshlrev_b32_e32 v21, 16, v88
	v_fmac_f32_e32 v3, v91, v80
	v_and_b32_e32 v64, 0xffff0000, v64
	v_dual_fmac_f32 v10, v26, v115 :: v_dual_and_b32 v33, 0xffff0000, v33
	v_fmac_f32_e32 v1, v90, v21
	s_delay_alu instid0(VALU_DEP_4) | instskip(SKIP_2) | instid1(VALU_DEP_3)
	v_dual_fmac_f32 v3, v92, v146 :: v_dual_and_b32 v88, 0xffff0000, v88
	v_dual_fmac_f32 v4, v26, v139 :: v_dual_and_b32 v37, 0xffff0000, v37
	v_lshlrev_b32_e32 v153, 16, v89
	v_fmac_f32_e32 v3, v93, v81
	s_delay_alu instid0(VALU_DEP_4) | instskip(SKIP_3) | instid1(VALU_DEP_4)
	v_dual_fmac_f32 v1, v91, v88 :: v_dual_lshlrev_b32 v138, 16, v73
	v_and_b32_e32 v74, 0xffff0000, v74
	v_dual_fmac_f32 v10, v27, v50 :: v_dual_and_b32 v41, 0xffff0000, v41
	v_dual_fmac_f32 v11, v92, v114 :: v_dual_lshlrev_b32 v140, 16, v75
	v_fmac_f32_e32 v1, v92, v153
	s_delay_alu instid0(VALU_DEP_4) | instskip(NEXT) | instid1(VALU_DEP_4)
	v_dual_fmac_f32 v4, v27, v74 :: v_dual_and_b32 v45, 0xffff0000, v45
	v_dual_fmac_f32 v10, v28, v116 :: v_dual_and_b32 v49, 0xffff0000, v49
	v_and_b32_e32 v53, 0xffff0000, v53
	s_delay_alu instid0(VALU_DEP_3) | instskip(NEXT) | instid1(VALU_DEP_3)
	v_dual_fmac_f32 v4, v28, v140 :: v_dual_and_b32 v75, 0xffff0000, v75
	v_dual_fmac_f32 v10, v29, v51 :: v_dual_and_b32 v57, 0xffff0000, v57
	v_and_b32_e32 v61, 0xffff0000, v61
	v_dual_fmac_f32 v14, v92, v102 :: v_dual_lshlrev_b32 v141, 16, v76
	s_delay_alu instid0(VALU_DEP_4) | instskip(SKIP_3) | instid1(VALU_DEP_4)
	v_dual_fmac_f32 v4, v29, v75 :: v_dual_lshlrev_b32 v133, 16, v68
	v_dual_fmac_f32 v15, v92, v98 :: v_dual_and_b32 v68, 0xffff0000, v68
	v_dual_fmac_f32 v9, v92, v122 :: v_dual_and_b32 v76, 0xffff0000, v76
	v_fmac_f32_e32 v10, v90, v117
	v_fmac_f32_e32 v4, v90, v141
	v_dual_fmac_f32 v6, v90, v133 :: v_dual_fmac_f32 v13, v91, v40
	v_dual_fmac_f32 v7, v91, v64 :: v_dual_lshlrev_b32 v134, 16, v69
	v_dual_fmac_f32 v12, v91, v44 :: v_dual_and_b32 v69, 0xffff0000, v69
	v_dual_fmac_f32 v10, v91, v52 :: v_dual_and_b32 v73, 0xffff0000, v73
	s_delay_alu instid0(VALU_DEP_3)
	v_dual_fmac_f32 v7, v92, v130 :: v_dual_lshlrev_b32 v142, 16, v77
	v_dual_fmac_f32 v4, v91, v76 :: v_dual_and_b32 v77, 0xffff0000, v77
	v_lshlrev_b32_e32 v150, 16, v85
	v_dual_fmac_f32 v6, v91, v68 :: v_dual_fmac_f32 v13, v92, v106
	v_fmac_f32_e32 v5, v91, v72
	v_dual_fmac_f32 v9, v93, v57 :: v_dual_fmac_f32 v2, v91, v84
	v_and_b32_e32 v85, 0xffff0000, v85
	v_dual_fmac_f32 v12, v92, v110 :: v_dual_and_b32 v89, 0xffff0000, v89
	v_fmac_f32_e32 v10, v92, v118
	s_delay_alu instid0(VALU_DEP_4)
	v_fmac_f32_e32 v2, v92, v150
	v_fmac_f32_e32 v6, v92, v134
	;; [unrolled: 1-line block ×3, first 2 shown]
	v_dual_fmac_f32 v4, v92, v142 :: v_dual_fmac_f32 v15, v93, v33
	v_fmac_f32_e32 v14, v93, v37
	v_fmac_f32_e32 v13, v93, v41
	;; [unrolled: 1-line block ×12, first 2 shown]
	s_cbranch_scc0 .LBB47_1
; %bb.2:
	v_mbcnt_lo_u32_b32 v20, -1, 0
	v_lshrrev_b32_e32 v24, 5, v0
	s_delay_alu instid0(VALU_DEP_2) | instskip(SKIP_1) | instid1(VALU_DEP_2)
	v_xor_b32_e32 v17, 16, v20
	v_xor_b32_e32 v18, 8, v20
	v_cmp_gt_i32_e32 vcc_lo, 32, v17
	v_cndmask_b32_e32 v17, v20, v17, vcc_lo
	s_delay_alu instid0(VALU_DEP_3) | instskip(SKIP_1) | instid1(VALU_DEP_1)
	v_cmp_gt_i32_e32 vcc_lo, 32, v18
	v_cndmask_b32_e32 v18, v20, v18, vcc_lo
	v_lshlrev_b32_e32 v18, 2, v18
	s_delay_alu instid0(VALU_DEP_4) | instskip(SKIP_4) | instid1(VALU_DEP_1)
	v_lshlrev_b32_e32 v17, 2, v17
	ds_bpermute_b32 v19, v17, v16
	s_waitcnt lgkmcnt(0)
	v_add_f32_e32 v19, v16, v19
	v_xor_b32_e32 v16, 4, v20
	v_cmp_gt_i32_e32 vcc_lo, 32, v16
	v_cndmask_b32_e32 v16, v20, v16, vcc_lo
	s_delay_alu instid0(VALU_DEP_1)
	v_lshlrev_b32_e32 v16, 2, v16
	ds_bpermute_b32 v21, v18, v19
	s_waitcnt lgkmcnt(0)
	v_add_f32_e32 v21, v19, v21
	v_xor_b32_e32 v19, 2, v20
	ds_bpermute_b32 v22, v16, v21
	v_cmp_gt_i32_e32 vcc_lo, 32, v19
	s_waitcnt lgkmcnt(0)
	v_dual_cndmask_b32 v19, v20, v19 :: v_dual_add_f32 v22, v21, v22
	v_xor_b32_e32 v21, 1, v20
	s_delay_alu instid0(VALU_DEP_1) | instskip(NEXT) | instid1(VALU_DEP_3)
	v_cmp_gt_i32_e32 vcc_lo, 32, v21
	v_dual_cndmask_b32 v20, v20, v21 :: v_dual_lshlrev_b32 v19, 2, v19
	ds_bpermute_b32 v23, v19, v22
	v_lshlrev_b32_e32 v21, 2, v20
	v_and_b32_e32 v20, 31, v0
	s_delay_alu instid0(VALU_DEP_1)
	v_cmp_eq_u32_e32 vcc_lo, 0, v20
	v_lshlrev_b32_e32 v20, 2, v24
	s_waitcnt lgkmcnt(0)
	v_add_f32_e32 v22, v22, v23
	ds_bpermute_b32 v23, v21, v22
	s_and_saveexec_b32 s0, vcc_lo
	s_cbranch_execz .LBB47_4
; %bb.3:
	s_waitcnt lgkmcnt(0)
	v_add_f32_e32 v22, v22, v23
	ds_store_b32 v20, v22
.LBB47_4:
	s_or_b32 exec_lo, exec_lo, s0
	ds_bpermute_b32 v22, v17, v15
	s_waitcnt lgkmcnt(0)
	v_add_f32_e32 v15, v15, v22
	ds_bpermute_b32 v22, v18, v15
	s_waitcnt lgkmcnt(0)
	v_add_f32_e32 v15, v15, v22
	ds_bpermute_b32 v22, v16, v15
	s_waitcnt lgkmcnt(0)
	v_add_f32_e32 v15, v15, v22
	ds_bpermute_b32 v22, v19, v15
	s_waitcnt lgkmcnt(0)
	v_add_f32_e32 v15, v15, v22
	ds_bpermute_b32 v22, v21, v15
	s_and_saveexec_b32 s0, vcc_lo
	s_cbranch_execz .LBB47_6
; %bb.5:
	s_waitcnt lgkmcnt(0)
	v_add_f32_e32 v15, v15, v22
	ds_store_b32 v20, v15 offset:16
.LBB47_6:
	s_or_b32 exec_lo, exec_lo, s0
	ds_bpermute_b32 v15, v17, v14
	s_waitcnt lgkmcnt(0)
	v_add_f32_e32 v14, v14, v15
	ds_bpermute_b32 v15, v18, v14
	s_waitcnt lgkmcnt(0)
	v_add_f32_e32 v14, v14, v15
	ds_bpermute_b32 v15, v16, v14
	s_waitcnt lgkmcnt(0)
	v_add_f32_e32 v14, v14, v15
	ds_bpermute_b32 v15, v19, v14
	s_waitcnt lgkmcnt(0)
	v_add_f32_e32 v14, v14, v15
	ds_bpermute_b32 v15, v21, v14
	s_and_saveexec_b32 s0, vcc_lo
	s_cbranch_execz .LBB47_8
; %bb.7:
	s_waitcnt lgkmcnt(0)
	v_add_f32_e32 v14, v14, v15
	ds_store_b32 v20, v14 offset:32
.LBB47_8:
	;; [unrolled: 21-line block ×15, first 2 shown]
	s_or_b32 exec_lo, exec_lo, s0
	s_waitcnt lgkmcnt(0)
	s_barrier
	buffer_gl0_inv
	s_mov_b32 s0, exec_lo
	v_cmpx_eq_u32_e32 0, v0
	s_cbranch_execz .LBB47_36
; %bb.35:
	v_mov_b32_e32 v44, 0
	s_ashr_i32 s3, s2, 31
	ds_load_b128 v[0:3], v44
	ds_load_b128 v[4:7], v44 offset:16
	ds_load_b128 v[8:11], v44 offset:32
	;; [unrolled: 1-line block ×7, first 2 shown]
	s_lshl_b64 s[0:1], s[2:3], 2
	s_delay_alu instid0(SALU_CYCLE_1)
	s_add_u32 s0, s4, s0
	s_addc_u32 s1, s5, s1
	s_waitcnt lgkmcnt(4)
	v_add_f32_e32 v12, 0, v12
	v_add_f32_e32 v0, 0, v0
	s_waitcnt lgkmcnt(2)
	v_add_f32_e32 v20, 0, v20
	v_add_f32_e32 v4, 0, v4
	;; [unrolled: 3-line block ×3, first 2 shown]
	s_delay_alu instid0(VALU_DEP_3)
	v_add_f32_e32 v1, v4, v5
	ds_load_b128 v[32:35], v44 offset:128
	ds_load_b128 v[36:39], v44 offset:144
	v_dual_add_f32 v8, 0, v8 :: v_dual_add_f32 v5, v12, v13
	ds_load_b128 v[40:43], v44 offset:160
	v_dual_add_f32 v1, v1, v6 :: v_dual_add_f32 v16, 0, v16
	v_add_f32_e32 v4, v8, v9
	v_add_f32_e32 v12, v24, v25
	s_waitcnt lgkmcnt(3)
	v_add_f32_e32 v28, 0, v28
	v_add_f32_e32 v0, v0, v2
	s_waitcnt lgkmcnt(1)
	v_add_f32_e32 v6, 0, v36
	v_add_f32_e32 v2, v4, v10
	;; [unrolled: 1-line block ×3, first 2 shown]
	s_delay_alu instid0(VALU_DEP_2) | instskip(NEXT) | instid1(VALU_DEP_2)
	v_add_f32_e32 v24, v2, v11
	v_add_f32_e32 v25, v4, v15
	;; [unrolled: 1-line block ×3, first 2 shown]
	v_dual_add_f32 v21, v1, v7 :: v_dual_add_f32 v8, v16, v17
	v_add_f32_e32 v1, v12, v26
	v_add_f32_e32 v2, v28, v29
	v_dual_add_f32 v20, v0, v3 :: v_dual_add_f32 v3, 0, v32
	s_delay_alu instid0(VALU_DEP_3) | instskip(NEXT) | instid1(VALU_DEP_3)
	v_dual_add_f32 v5, v8, v18 :: v_dual_add_f32 v26, v1, v27
	v_add_f32_e32 v4, v2, v30
	v_dual_add_f32 v0, v9, v22 :: v_dual_add_f32 v29, v6, v37
	s_delay_alu instid0(VALU_DEP_3) | instskip(SKIP_1) | instid1(VALU_DEP_4)
	v_add_f32_e32 v45, v5, v19
	v_add_f32_e32 v5, v3, v33
	;; [unrolled: 1-line block ×3, first 2 shown]
	s_delay_alu instid0(VALU_DEP_4)
	v_add_f32_e32 v23, v0, v23
	ds_load_b128 v[0:3], v44 offset:176
	s_waitcnt lgkmcnt(1)
	v_add_f32_e32 v8, 0, v40
	v_add_f32_e32 v28, v5, v34
	ds_load_b128 v[4:7], v44 offset:192
	v_add_f32_e32 v30, v8, v41
	ds_load_b128 v[8:11], v44 offset:208
	ds_load_b128 v[12:15], v44 offset:224
	;; [unrolled: 1-line block ×3, first 2 shown]
	s_waitcnt lgkmcnt(4)
	v_add_f32_e32 v0, 0, v0
	s_waitcnt lgkmcnt(3)
	v_add_f32_e32 v4, 0, v4
	s_waitcnt lgkmcnt(2)
	s_delay_alu instid0(VALU_DEP_2)
	v_dual_add_f32 v0, v0, v1 :: v_dual_add_f32 v1, 0, v8
	s_waitcnt lgkmcnt(1)
	v_add_f32_e32 v8, 0, v12
	s_waitcnt lgkmcnt(0)
	v_add_f32_e32 v12, 0, v16
	v_mov_b32_e32 v22, 0x1000
	v_add_f32_e32 v4, v4, v5
	v_dual_add_f32 v0, v0, v2 :: v_dual_add_f32 v1, v1, v9
	s_delay_alu instid0(VALU_DEP_4) | instskip(SKIP_1) | instid1(VALU_DEP_4)
	v_add_f32_e32 v5, v12, v17
	v_add_f32_e32 v2, v8, v13
	v_add_f32_e32 v4, v4, v6
	s_delay_alu instid0(VALU_DEP_4) | instskip(NEXT) | instid1(VALU_DEP_4)
	v_dual_add_f32 v0, v0, v3 :: v_dual_add_f32 v1, v1, v10
	v_add_f32_e32 v3, v5, v18
	v_mov_b32_e32 v5, 0x3000
	s_clause 0x7
	global_store_b32 v44, v20, s[0:1]
	global_store_b32 v44, v21, s[0:1] offset:1024
	global_store_b32 v44, v24, s[0:1] offset:2048
	;; [unrolled: 1-line block ×3, first 2 shown]
	global_store_b32 v22, v45, s[0:1]
	global_store_b32 v22, v23, s[0:1] offset:1024
	global_store_b32 v22, v26, s[0:1] offset:2048
	;; [unrolled: 1-line block ×3, first 2 shown]
	v_add_f32_e32 v20, v29, v38
	v_dual_add_f32 v21, v30, v42 :: v_dual_add_f32 v22, v28, v35
	v_dual_mov_b32 v23, 0x2000 :: v_dual_add_f32 v2, v2, v14
	s_delay_alu instid0(VALU_DEP_3) | instskip(NEXT) | instid1(VALU_DEP_3)
	v_add_f32_e32 v20, v20, v39
	v_add_f32_e32 v21, v21, v43
	;; [unrolled: 1-line block ×6, first 2 shown]
	s_clause 0x7
	global_store_b32 v23, v22, s[0:1]
	global_store_b32 v23, v20, s[0:1] offset:1024
	global_store_b32 v23, v21, s[0:1] offset:2048
	;; [unrolled: 1-line block ×3, first 2 shown]
	global_store_b32 v5, v4, s[0:1]
	global_store_b32 v5, v1, s[0:1] offset:1024
	global_store_b32 v5, v2, s[0:1] offset:2048
	;; [unrolled: 1-line block ×3, first 2 shown]
.LBB47_36:
	s_nop 0
	s_sendmsg sendmsg(MSG_DEALLOC_VGPRS)
	s_endpgm
	.section	.rodata,"a",@progbits
	.p2align	6, 0x0
	.amdhsa_kernel _Z23fp32_router_gemm_kernelI14__hip_bfloat16Li128ELi16ELi256ELi3072EEvPfPKT_PKf
		.amdhsa_group_segment_fixed_size 256
		.amdhsa_private_segment_fixed_size 0
		.amdhsa_kernarg_size 24
		.amdhsa_user_sgpr_count 15
		.amdhsa_user_sgpr_dispatch_ptr 0
		.amdhsa_user_sgpr_queue_ptr 0
		.amdhsa_user_sgpr_kernarg_segment_ptr 1
		.amdhsa_user_sgpr_dispatch_id 0
		.amdhsa_user_sgpr_private_segment_size 0
		.amdhsa_wavefront_size32 1
		.amdhsa_uses_dynamic_stack 0
		.amdhsa_enable_private_segment 0
		.amdhsa_system_sgpr_workgroup_id_x 1
		.amdhsa_system_sgpr_workgroup_id_y 0
		.amdhsa_system_sgpr_workgroup_id_z 0
		.amdhsa_system_sgpr_workgroup_info 0
		.amdhsa_system_vgpr_workitem_id 0
		.amdhsa_next_free_vgpr 154
		.amdhsa_next_free_sgpr 16
		.amdhsa_reserve_vcc 1
		.amdhsa_float_round_mode_32 0
		.amdhsa_float_round_mode_16_64 0
		.amdhsa_float_denorm_mode_32 3
		.amdhsa_float_denorm_mode_16_64 3
		.amdhsa_dx10_clamp 1
		.amdhsa_ieee_mode 1
		.amdhsa_fp16_overflow 0
		.amdhsa_workgroup_processor_mode 1
		.amdhsa_memory_ordered 1
		.amdhsa_forward_progress 0
		.amdhsa_shared_vgpr_count 0
		.amdhsa_exception_fp_ieee_invalid_op 0
		.amdhsa_exception_fp_denorm_src 0
		.amdhsa_exception_fp_ieee_div_zero 0
		.amdhsa_exception_fp_ieee_overflow 0
		.amdhsa_exception_fp_ieee_underflow 0
		.amdhsa_exception_fp_ieee_inexact 0
		.amdhsa_exception_int_div_zero 0
	.end_amdhsa_kernel
	.section	.text._Z23fp32_router_gemm_kernelI14__hip_bfloat16Li128ELi16ELi256ELi3072EEvPfPKT_PKf,"axG",@progbits,_Z23fp32_router_gemm_kernelI14__hip_bfloat16Li128ELi16ELi256ELi3072EEvPfPKT_PKf,comdat
.Lfunc_end47:
	.size	_Z23fp32_router_gemm_kernelI14__hip_bfloat16Li128ELi16ELi256ELi3072EEvPfPKT_PKf, .Lfunc_end47-_Z23fp32_router_gemm_kernelI14__hip_bfloat16Li128ELi16ELi256ELi3072EEvPfPKT_PKf
                                        ; -- End function
	.section	.AMDGPU.csdata,"",@progbits
; Kernel info:
; codeLenInByte = 4432
; NumSgprs: 18
; NumVgprs: 154
; ScratchSize: 0
; MemoryBound: 0
; FloatMode: 240
; IeeeMode: 1
; LDSByteSize: 256 bytes/workgroup (compile time only)
; SGPRBlocks: 2
; VGPRBlocks: 19
; NumSGPRsForWavesPerEU: 18
; NumVGPRsForWavesPerEU: 154
; Occupancy: 9
; WaveLimiterHint : 1
; COMPUTE_PGM_RSRC2:SCRATCH_EN: 0
; COMPUTE_PGM_RSRC2:USER_SGPR: 15
; COMPUTE_PGM_RSRC2:TRAP_HANDLER: 0
; COMPUTE_PGM_RSRC2:TGID_X_EN: 1
; COMPUTE_PGM_RSRC2:TGID_Y_EN: 0
; COMPUTE_PGM_RSRC2:TGID_Z_EN: 0
; COMPUTE_PGM_RSRC2:TIDIG_COMP_CNT: 0
	.section	.text._Z23fp32_router_gemm_kernelI14__hip_bfloat16Li128ELi17ELi256ELi3072EEvPfPKT_PKf,"axG",@progbits,_Z23fp32_router_gemm_kernelI14__hip_bfloat16Li128ELi17ELi256ELi3072EEvPfPKT_PKf,comdat
	.protected	_Z23fp32_router_gemm_kernelI14__hip_bfloat16Li128ELi17ELi256ELi3072EEvPfPKT_PKf ; -- Begin function _Z23fp32_router_gemm_kernelI14__hip_bfloat16Li128ELi17ELi256ELi3072EEvPfPKT_PKf
	.globl	_Z23fp32_router_gemm_kernelI14__hip_bfloat16Li128ELi17ELi256ELi3072EEvPfPKT_PKf
	.p2align	8
	.type	_Z23fp32_router_gemm_kernelI14__hip_bfloat16Li128ELi17ELi256ELi3072EEvPfPKT_PKf,@function
_Z23fp32_router_gemm_kernelI14__hip_bfloat16Li128ELi17ELi256ELi3072EEvPfPKT_PKf: ; @_Z23fp32_router_gemm_kernelI14__hip_bfloat16Li128ELi17ELi256ELi3072EEvPfPKT_PKf
; %bb.0:
	s_clause 0x1
	s_load_b128 s[4:7], s[0:1], 0x0
	s_load_b64 s[0:1], s[0:1], 0x10
	v_dual_mov_b32 v25, 0 :: v_dual_lshlrev_b32 v26, 3, v0
	s_mul_i32 s8, s15, 0xc00
	v_dual_mov_b32 v24, 0 :: v_dual_mov_b32 v23, 0
	s_ashr_i32 s9, s8, 31
	s_delay_alu instid0(VALU_DEP_2)
	v_or_b32_e32 v27, 0x400, v26
	s_lshl_b64 s[8:9], s[8:9], 2
	v_or_b32_e32 v28, 0x800, v26
	v_dual_mov_b32 v22, 0 :: v_dual_mov_b32 v21, 0
	v_dual_mov_b32 v20, 0 :: v_dual_mov_b32 v19, 0
	;; [unrolled: 1-line block ×7, first 2 shown]
	s_waitcnt lgkmcnt(0)
	s_add_u32 s0, s0, s8
	s_mov_b32 s2, s15
	s_addc_u32 s1, s1, s9
	s_mov_b64 s[8:9], 0
.LBB48_1:                               ; =>This Inner Loop Header: Depth=1
	s_delay_alu instid0(SALU_CYCLE_1)
	s_cmp_eq_u32 s8, 1
	s_cselect_b32 vcc_lo, -1, 0
	s_cmp_eq_u32 s8, 2
	v_cndmask_b32_e32 v1, v26, v27, vcc_lo
	s_cselect_b32 vcc_lo, -1, 0
	s_add_u32 s8, s8, 1
	s_addc_u32 s9, s9, 0
	s_cmp_eq_u32 s8, 3
	v_cndmask_b32_e32 v1, v1, v28, vcc_lo
	s_delay_alu instid0(VALU_DEP_1)
	v_lshlrev_b32_e32 v29, 2, v1
	v_lshlrev_b32_e32 v1, 1, v1
	global_load_b128 v[5:8], v29, s[0:1]
	v_add_co_u32 v32, s3, s6, v1
	global_load_b128 v[1:4], v1, s[6:7]
	v_add_co_ci_u32_e64 v33, null, s7, 0, s3
	v_add_co_u32 v30, vcc_lo, 0x1000, v32
	s_delay_alu instid0(VALU_DEP_2)
	v_add_co_ci_u32_e32 v31, vcc_lo, 0, v33, vcc_lo
	v_add_co_u32 v34, vcc_lo, 0x3000, v32
	v_add_co_ci_u32_e32 v35, vcc_lo, 0, v33, vcc_lo
	v_add_co_u32 v38, vcc_lo, 0x4000, v32
	;; [unrolled: 2-line block ×15, first 2 shown]
	v_add_co_ci_u32_e32 v91, vcc_lo, 0, v33, vcc_lo
	s_clause 0xe
	global_load_b128 v[30:33], v[30:31], off offset:2048
	global_load_b128 v[34:37], v[34:35], off
	global_load_b128 v[38:41], v[38:39], off offset:2048
	global_load_b128 v[42:45], v[42:43], off
	;; [unrolled: 2-line block ×7, first 2 shown]
	global_load_b128 v[86:89], v[86:87], off offset:2048
	s_waitcnt vmcnt(15)
	v_lshlrev_b32_e32 v92, 16, v1
	v_and_b32_e32 v1, 0xffff0000, v1
	s_delay_alu instid0(VALU_DEP_2) | instskip(SKIP_3) | instid1(VALU_DEP_1)
	v_fmac_f32_e32 v25, v5, v92
	global_load_b128 v[90:93], v[90:91], off
	v_fmac_f32_e32 v25, v6, v1
	v_lshlrev_b32_e32 v1, 16, v2
	v_fmac_f32_e32 v25, v7, v1
	s_waitcnt vmcnt(15)
	v_lshlrev_b32_e32 v1, 16, v30
	s_waitcnt vmcnt(14)
	s_delay_alu instid0(VALU_DEP_1) | instskip(NEXT) | instid1(VALU_DEP_1)
	v_dual_fmac_f32 v24, v5, v1 :: v_dual_lshlrev_b32 v1, 16, v34
	v_fmac_f32_e32 v23, v5, v1
	s_waitcnt vmcnt(13)
	v_lshlrev_b32_e32 v1, 16, v38
	s_waitcnt vmcnt(12)
	s_delay_alu instid0(VALU_DEP_1) | instskip(NEXT) | instid1(VALU_DEP_1)
	v_dual_fmac_f32 v22, v5, v1 :: v_dual_lshlrev_b32 v1, 16, v42
	;; [unrolled: 6-line block ×8, first 2 shown]
	v_fmac_f32_e32 v9, v5, v1
	v_and_b32_e32 v1, 0xffff0000, v2
	v_lshlrev_b32_e32 v5, 16, v3
	s_delay_alu instid0(VALU_DEP_2) | instskip(SKIP_2) | instid1(VALU_DEP_2)
	v_fmac_f32_e32 v25, v8, v1
	v_and_b32_e32 v1, 0xffff0000, v30
	v_lshlrev_b32_e32 v30, 16, v32
	v_dual_fmac_f32 v24, v6, v1 :: v_dual_and_b32 v1, 0xffff0000, v34
	s_delay_alu instid0(VALU_DEP_1) | instskip(SKIP_2) | instid1(VALU_DEP_2)
	v_dual_fmac_f32 v23, v6, v1 :: v_dual_lshlrev_b32 v34, 16, v36
	v_and_b32_e32 v1, 0xffff0000, v38
	v_lshlrev_b32_e32 v38, 16, v40
	v_dual_fmac_f32 v22, v6, v1 :: v_dual_and_b32 v1, 0xffff0000, v42
	s_delay_alu instid0(VALU_DEP_1) | instskip(SKIP_2) | instid1(VALU_DEP_2)
	v_dual_fmac_f32 v21, v6, v1 :: v_dual_lshlrev_b32 v42, 16, v44
	;; [unrolled: 5-line block ×8, first 2 shown]
	v_lshlrev_b32_e32 v1, 16, v31
	v_and_b32_e32 v6, 0xffff0000, v3
	v_dual_fmac_f32 v24, v7, v1 :: v_dual_lshlrev_b32 v1, 16, v35
	s_delay_alu instid0(VALU_DEP_1) | instskip(SKIP_1) | instid1(VALU_DEP_1)
	v_fmac_f32_e32 v23, v7, v1
	v_lshlrev_b32_e32 v1, 16, v39
	v_dual_fmac_f32 v22, v7, v1 :: v_dual_lshlrev_b32 v1, 16, v43
	s_delay_alu instid0(VALU_DEP_1) | instskip(SKIP_1) | instid1(VALU_DEP_1)
	v_fmac_f32_e32 v21, v7, v1
	v_lshlrev_b32_e32 v1, 16, v47
	;; [unrolled: 4-line block ×7, first 2 shown]
	v_dual_fmac_f32 v10, v7, v1 :: v_dual_lshlrev_b32 v1, 16, v91
	s_delay_alu instid0(VALU_DEP_1) | instskip(SKIP_2) | instid1(VALU_DEP_2)
	v_fmac_f32_e32 v9, v7, v1
	v_and_b32_e32 v1, 0xffff0000, v31
	v_lshlrev_b32_e32 v7, 16, v4
	v_dual_fmac_f32 v24, v8, v1 :: v_dual_and_b32 v31, 0xffff0000, v32
	v_and_b32_e32 v1, 0xffff0000, v35
	v_and_b32_e32 v35, 0xffff0000, v36
	s_delay_alu instid0(VALU_DEP_2) | instskip(SKIP_1) | instid1(VALU_DEP_1)
	v_fmac_f32_e32 v23, v8, v1
	v_and_b32_e32 v1, 0xffff0000, v39
	v_dual_fmac_f32 v22, v8, v1 :: v_dual_and_b32 v39, 0xffff0000, v40
	v_and_b32_e32 v1, 0xffff0000, v43
	v_and_b32_e32 v43, 0xffff0000, v44
	s_delay_alu instid0(VALU_DEP_2) | instskip(SKIP_1) | instid1(VALU_DEP_1)
	v_fmac_f32_e32 v21, v8, v1
	v_and_b32_e32 v1, 0xffff0000, v47
	;; [unrolled: 6-line block ×7, first 2 shown]
	v_dual_fmac_f32 v10, v8, v1 :: v_dual_and_b32 v87, 0xffff0000, v88
	v_and_b32_e32 v1, 0xffff0000, v91
	v_and_b32_e32 v91, 0xffff0000, v92
	s_delay_alu instid0(VALU_DEP_2)
	v_dual_fmac_f32 v9, v8, v1 :: v_dual_and_b32 v8, 0xffff0000, v4
	global_load_b128 v[1:4], v29, s[0:1] offset:16
	v_lshlrev_b32_e32 v36, 16, v37
	v_lshlrev_b32_e32 v40, 16, v41
	;; [unrolled: 1-line block ×8, first 2 shown]
	v_and_b32_e32 v37, 0xffff0000, v37
	v_and_b32_e32 v41, 0xffff0000, v41
	;; [unrolled: 1-line block ×8, first 2 shown]
	s_waitcnt vmcnt(0)
	v_fmac_f32_e32 v9, v1, v90
	v_fmac_f32_e32 v25, v1, v5
	;; [unrolled: 1-line block ×18, first 2 shown]
	v_dual_fmac_f32 v25, v3, v7 :: v_dual_lshlrev_b32 v32, 16, v33
	v_lshlrev_b32_e32 v68, 16, v69
	v_dual_fmac_f32 v23, v2, v35 :: v_dual_lshlrev_b32 v72, 16, v73
	v_dual_fmac_f32 v21, v2, v43 :: v_dual_lshlrev_b32 v76, 16, v77
	;; [unrolled: 1-line block ×6, first 2 shown]
	v_fmac_f32_e32 v24, v2, v31
	v_fmac_f32_e32 v22, v2, v39
	;; [unrolled: 1-line block ×10, first 2 shown]
	v_and_b32_e32 v33, 0xffff0000, v33
	v_and_b32_e32 v69, 0xffff0000, v69
	;; [unrolled: 1-line block ×8, first 2 shown]
	v_fmac_f32_e32 v25, v4, v8
	v_fmac_f32_e32 v24, v3, v32
	;; [unrolled: 1-line block ×16, first 2 shown]
	v_dual_fmac_f32 v9, v3, v92 :: v_dual_fmac_f32 v24, v4, v33
	v_fmac_f32_e32 v23, v4, v37
	v_fmac_f32_e32 v22, v4, v41
	;; [unrolled: 1-line block ×15, first 2 shown]
	s_cbranch_scc0 .LBB48_1
; %bb.2:
	v_mbcnt_lo_u32_b32 v5, -1, 0
	s_delay_alu instid0(VALU_DEP_1) | instskip(SKIP_1) | instid1(VALU_DEP_2)
	v_xor_b32_e32 v1, 16, v5
	v_xor_b32_e32 v2, 8, v5
	v_cmp_gt_i32_e32 vcc_lo, 32, v1
	v_cndmask_b32_e32 v1, v5, v1, vcc_lo
	s_delay_alu instid0(VALU_DEP_3) | instskip(SKIP_1) | instid1(VALU_DEP_1)
	v_cmp_gt_i32_e32 vcc_lo, 32, v2
	v_cndmask_b32_e32 v2, v5, v2, vcc_lo
	v_lshlrev_b32_e32 v2, 2, v2
	s_delay_alu instid0(VALU_DEP_4)
	v_lshlrev_b32_e32 v1, 2, v1
	ds_bpermute_b32 v3, v1, v25
	s_waitcnt lgkmcnt(0)
	v_add_f32_e32 v4, v25, v3
	v_xor_b32_e32 v3, 4, v5
	v_lshrrev_b32_e32 v25, 5, v0
	ds_bpermute_b32 v6, v2, v4
	v_cmp_gt_i32_e32 vcc_lo, 32, v3
	s_waitcnt lgkmcnt(0)
	v_dual_cndmask_b32 v3, v5, v3 :: v_dual_add_f32 v6, v4, v6
	s_delay_alu instid0(VALU_DEP_1)
	v_lshlrev_b32_e32 v3, 2, v3
	v_xor_b32_e32 v4, 2, v5
	ds_bpermute_b32 v7, v3, v6
	v_cmp_gt_i32_e32 vcc_lo, 32, v4
	s_waitcnt lgkmcnt(0)
	v_dual_cndmask_b32 v4, v5, v4 :: v_dual_add_f32 v7, v6, v7
	v_xor_b32_e32 v6, 1, v5
	s_delay_alu instid0(VALU_DEP_1) | instskip(NEXT) | instid1(VALU_DEP_3)
	v_cmp_gt_i32_e32 vcc_lo, 32, v6
	v_dual_cndmask_b32 v5, v5, v6 :: v_dual_lshlrev_b32 v4, 2, v4
	ds_bpermute_b32 v8, v4, v7
	v_lshlrev_b32_e32 v6, 2, v5
	v_and_b32_e32 v5, 31, v0
	s_delay_alu instid0(VALU_DEP_1)
	v_cmp_eq_u32_e32 vcc_lo, 0, v5
	v_lshlrev_b32_e32 v5, 2, v25
	s_waitcnt lgkmcnt(0)
	v_add_f32_e32 v7, v7, v8
	ds_bpermute_b32 v8, v6, v7
	s_and_saveexec_b32 s0, vcc_lo
	s_cbranch_execz .LBB48_4
; %bb.3:
	s_waitcnt lgkmcnt(0)
	v_add_f32_e32 v7, v7, v8
	ds_store_b32 v5, v7
.LBB48_4:
	s_or_b32 exec_lo, exec_lo, s0
	ds_bpermute_b32 v7, v1, v24
	s_waitcnt lgkmcnt(0)
	v_add_f32_e32 v7, v24, v7
	ds_bpermute_b32 v8, v2, v7
	s_waitcnt lgkmcnt(0)
	v_add_f32_e32 v7, v7, v8
	ds_bpermute_b32 v8, v3, v7
	s_waitcnt lgkmcnt(0)
	v_add_f32_e32 v7, v7, v8
	ds_bpermute_b32 v8, v4, v7
	s_waitcnt lgkmcnt(0)
	v_add_f32_e32 v7, v7, v8
	ds_bpermute_b32 v8, v6, v7
	s_and_saveexec_b32 s0, vcc_lo
	s_cbranch_execz .LBB48_6
; %bb.5:
	s_waitcnt lgkmcnt(0)
	v_add_f32_e32 v7, v7, v8
	ds_store_b32 v5, v7 offset:16
.LBB48_6:
	s_or_b32 exec_lo, exec_lo, s0
	ds_bpermute_b32 v7, v1, v23
	s_waitcnt lgkmcnt(0)
	v_add_f32_e32 v7, v23, v7
	ds_bpermute_b32 v8, v2, v7
	s_waitcnt lgkmcnt(0)
	v_add_f32_e32 v7, v7, v8
	ds_bpermute_b32 v8, v3, v7
	s_waitcnt lgkmcnt(0)
	v_add_f32_e32 v7, v7, v8
	ds_bpermute_b32 v8, v4, v7
	s_waitcnt lgkmcnt(0)
	v_add_f32_e32 v7, v7, v8
	ds_bpermute_b32 v8, v6, v7
	s_and_saveexec_b32 s0, vcc_lo
	s_cbranch_execz .LBB48_8
; %bb.7:
	s_waitcnt lgkmcnt(0)
	v_add_f32_e32 v7, v7, v8
	ds_store_b32 v5, v7 offset:32
.LBB48_8:
	;; [unrolled: 21-line block ×16, first 2 shown]
	s_or_b32 exec_lo, exec_lo, s0
	s_waitcnt lgkmcnt(0)
	s_barrier
	buffer_gl0_inv
	s_mov_b32 s0, exec_lo
	v_cmpx_eq_u32_e32 0, v0
	s_cbranch_execz .LBB48_38
; %bb.37:
	v_mov_b32_e32 v48, 0
	s_ashr_i32 s3, s2, 31
	ds_load_b128 v[0:3], v48
	ds_load_b128 v[4:7], v48 offset:16
	ds_load_b128 v[8:11], v48 offset:32
	;; [unrolled: 1-line block ×7, first 2 shown]
	s_lshl_b64 s[0:1], s[2:3], 2
	s_delay_alu instid0(SALU_CYCLE_1)
	s_add_u32 s0, s4, s0
	s_addc_u32 s1, s5, s1
	s_waitcnt lgkmcnt(4)
	v_add_f32_e32 v12, 0, v12
	v_add_f32_e32 v0, 0, v0
	s_waitcnt lgkmcnt(2)
	v_add_f32_e32 v20, 0, v20
	v_add_f32_e32 v4, 0, v4
	;; [unrolled: 3-line block ×3, first 2 shown]
	s_delay_alu instid0(VALU_DEP_3)
	v_dual_add_f32 v1, v4, v5 :: v_dual_add_f32 v8, 0, v8
	ds_load_b128 v[32:35], v48 offset:128
	ds_load_b128 v[36:39], v48 offset:144
	ds_load_b128 v[40:43], v48 offset:160
	ds_load_b128 v[44:47], v48 offset:176
	v_add_f32_e32 v5, v12, v13
	v_add_f32_e32 v0, v0, v2
	v_dual_add_f32 v1, v1, v6 :: v_dual_add_f32 v4, v8, v9
	v_add_f32_e32 v12, v24, v25
	v_add_f32_e32 v16, 0, v16
	s_delay_alu instid0(VALU_DEP_3) | instskip(SKIP_1) | instid1(VALU_DEP_1)
	v_add_f32_e32 v2, v4, v10
	v_add_f32_e32 v4, v5, v14
	;; [unrolled: 1-line block ×5, first 2 shown]
	s_waitcnt lgkmcnt(3)
	v_dual_add_f32 v20, v0, v3 :: v_dual_add_f32 v3, 0, v32
	s_waitcnt lgkmcnt(0)
	v_dual_add_f32 v6, 0, v44 :: v_dual_add_f32 v1, v9, v22
	v_add_f32_e32 v28, 0, v28
	v_add_f32_e32 v4, 0, v36
	s_delay_alu instid0(VALU_DEP_3) | instskip(NEXT) | instid1(VALU_DEP_3)
	v_dual_add_f32 v32, v6, v45 :: v_dual_add_f32 v23, v1, v23
	v_add_f32_e32 v0, v28, v29
	v_add_f32_e32 v1, v3, v33
	;; [unrolled: 1-line block ×11, first 2 shown]
	ds_load_b128 v[0:3], v48 offset:192
	v_dual_add_f32 v28, v5, v19 :: v_dual_add_f32 v5, 0, v40
	s_delay_alu instid0(VALU_DEP_1)
	v_add_f32_e32 v31, v5, v41
	ds_load_b128 v[4:7], v48 offset:208
	ds_load_b128 v[8:11], v48 offset:224
	;; [unrolled: 1-line block ×4, first 2 shown]
	s_waitcnt lgkmcnt(4)
	v_add_f32_e32 v0, 0, v0
	s_waitcnt lgkmcnt(3)
	s_delay_alu instid0(VALU_DEP_1)
	v_dual_add_f32 v0, v0, v1 :: v_dual_add_f32 v1, 0, v4
	s_waitcnt lgkmcnt(2)
	v_add_f32_e32 v4, 0, v8
	s_waitcnt lgkmcnt(1)
	v_add_f32_e32 v8, 0, v12
	;; [unrolled: 2-line block ×3, first 2 shown]
	v_dual_add_f32 v0, v0, v2 :: v_dual_add_f32 v1, v1, v5
	v_add_f32_e32 v2, v4, v9
	v_add_f32_e32 v4, v8, v13
	s_delay_alu instid0(VALU_DEP_4) | instskip(NEXT) | instid1(VALU_DEP_4)
	v_add_f32_e32 v5, v12, v17
	v_add_f32_e32 v0, v0, v3
	v_dual_mov_b32 v22, 0x1000 :: v_dual_add_f32 v1, v1, v6
	s_delay_alu instid0(VALU_DEP_4)
	v_add_f32_e32 v3, v4, v14
	s_clause 0x7
	global_store_b32 v48, v20, s[0:1]
	global_store_b32 v48, v21, s[0:1] offset:1024
	global_store_b32 v48, v24, s[0:1] offset:2048
	;; [unrolled: 1-line block ×3, first 2 shown]
	global_store_b32 v22, v28, s[0:1]
	global_store_b32 v22, v23, s[0:1] offset:1024
	global_store_b32 v22, v26, s[0:1] offset:2048
	;; [unrolled: 1-line block ×3, first 2 shown]
	v_add_f32_e32 v22, v31, v42
	v_dual_add_f32 v23, v32, v46 :: v_dual_add_f32 v20, v29, v35
	v_add_f32_e32 v3, v3, v15
	v_dual_add_f32 v21, v30, v38 :: v_dual_mov_b32 v24, 0x2000
	v_add_f32_e32 v2, v2, v10
	v_add_f32_e32 v4, v5, v18
	;; [unrolled: 1-line block ×3, first 2 shown]
	s_delay_alu instid0(VALU_DEP_4)
	v_add_f32_e32 v21, v21, v39
	v_add_f32_e32 v23, v23, v47
	v_mov_b32_e32 v5, 0x3000
	v_add_f32_e32 v1, v1, v7
	v_add_f32_e32 v2, v2, v11
	;; [unrolled: 1-line block ×3, first 2 shown]
	v_mov_b32_e32 v6, 0x4000
	s_clause 0x8
	global_store_b32 v24, v20, s[0:1]
	global_store_b32 v24, v21, s[0:1] offset:1024
	global_store_b32 v24, v22, s[0:1] offset:2048
	;; [unrolled: 1-line block ×3, first 2 shown]
	global_store_b32 v5, v0, s[0:1]
	global_store_b32 v5, v1, s[0:1] offset:1024
	global_store_b32 v5, v2, s[0:1] offset:2048
	;; [unrolled: 1-line block ×3, first 2 shown]
	global_store_b32 v6, v4, s[0:1]
.LBB48_38:
	s_nop 0
	s_sendmsg sendmsg(MSG_DEALLOC_VGPRS)
	s_endpgm
	.section	.rodata,"a",@progbits
	.p2align	6, 0x0
	.amdhsa_kernel _Z23fp32_router_gemm_kernelI14__hip_bfloat16Li128ELi17ELi256ELi3072EEvPfPKT_PKf
		.amdhsa_group_segment_fixed_size 272
		.amdhsa_private_segment_fixed_size 0
		.amdhsa_kernarg_size 24
		.amdhsa_user_sgpr_count 15
		.amdhsa_user_sgpr_dispatch_ptr 0
		.amdhsa_user_sgpr_queue_ptr 0
		.amdhsa_user_sgpr_kernarg_segment_ptr 1
		.amdhsa_user_sgpr_dispatch_id 0
		.amdhsa_user_sgpr_private_segment_size 0
		.amdhsa_wavefront_size32 1
		.amdhsa_uses_dynamic_stack 0
		.amdhsa_enable_private_segment 0
		.amdhsa_system_sgpr_workgroup_id_x 1
		.amdhsa_system_sgpr_workgroup_id_y 0
		.amdhsa_system_sgpr_workgroup_id_z 0
		.amdhsa_system_sgpr_workgroup_info 0
		.amdhsa_system_vgpr_workitem_id 0
		.amdhsa_next_free_vgpr 94
		.amdhsa_next_free_sgpr 16
		.amdhsa_reserve_vcc 1
		.amdhsa_float_round_mode_32 0
		.amdhsa_float_round_mode_16_64 0
		.amdhsa_float_denorm_mode_32 3
		.amdhsa_float_denorm_mode_16_64 3
		.amdhsa_dx10_clamp 1
		.amdhsa_ieee_mode 1
		.amdhsa_fp16_overflow 0
		.amdhsa_workgroup_processor_mode 1
		.amdhsa_memory_ordered 1
		.amdhsa_forward_progress 0
		.amdhsa_shared_vgpr_count 0
		.amdhsa_exception_fp_ieee_invalid_op 0
		.amdhsa_exception_fp_denorm_src 0
		.amdhsa_exception_fp_ieee_div_zero 0
		.amdhsa_exception_fp_ieee_overflow 0
		.amdhsa_exception_fp_ieee_underflow 0
		.amdhsa_exception_fp_ieee_inexact 0
		.amdhsa_exception_int_div_zero 0
	.end_amdhsa_kernel
	.section	.text._Z23fp32_router_gemm_kernelI14__hip_bfloat16Li128ELi17ELi256ELi3072EEvPfPKT_PKf,"axG",@progbits,_Z23fp32_router_gemm_kernelI14__hip_bfloat16Li128ELi17ELi256ELi3072EEvPfPKT_PKf,comdat
.Lfunc_end48:
	.size	_Z23fp32_router_gemm_kernelI14__hip_bfloat16Li128ELi17ELi256ELi3072EEvPfPKT_PKf, .Lfunc_end48-_Z23fp32_router_gemm_kernelI14__hip_bfloat16Li128ELi17ELi256ELi3072EEvPfPKT_PKf
                                        ; -- End function
	.section	.AMDGPU.csdata,"",@progbits
; Kernel info:
; codeLenInByte = 4752
; NumSgprs: 18
; NumVgprs: 94
; ScratchSize: 0
; MemoryBound: 0
; FloatMode: 240
; IeeeMode: 1
; LDSByteSize: 272 bytes/workgroup (compile time only)
; SGPRBlocks: 2
; VGPRBlocks: 11
; NumSGPRsForWavesPerEU: 18
; NumVGPRsForWavesPerEU: 94
; Occupancy: 16
; WaveLimiterHint : 1
; COMPUTE_PGM_RSRC2:SCRATCH_EN: 0
; COMPUTE_PGM_RSRC2:USER_SGPR: 15
; COMPUTE_PGM_RSRC2:TRAP_HANDLER: 0
; COMPUTE_PGM_RSRC2:TGID_X_EN: 1
; COMPUTE_PGM_RSRC2:TGID_Y_EN: 0
; COMPUTE_PGM_RSRC2:TGID_Z_EN: 0
; COMPUTE_PGM_RSRC2:TIDIG_COMP_CNT: 0
	.section	.text._Z23fp32_router_gemm_kernelI14__hip_bfloat16Li128ELi18ELi256ELi3072EEvPfPKT_PKf,"axG",@progbits,_Z23fp32_router_gemm_kernelI14__hip_bfloat16Li128ELi18ELi256ELi3072EEvPfPKT_PKf,comdat
	.protected	_Z23fp32_router_gemm_kernelI14__hip_bfloat16Li128ELi18ELi256ELi3072EEvPfPKT_PKf ; -- Begin function _Z23fp32_router_gemm_kernelI14__hip_bfloat16Li128ELi18ELi256ELi3072EEvPfPKT_PKf
	.globl	_Z23fp32_router_gemm_kernelI14__hip_bfloat16Li128ELi18ELi256ELi3072EEvPfPKT_PKf
	.p2align	8
	.type	_Z23fp32_router_gemm_kernelI14__hip_bfloat16Li128ELi18ELi256ELi3072EEvPfPKT_PKf,@function
_Z23fp32_router_gemm_kernelI14__hip_bfloat16Li128ELi18ELi256ELi3072EEvPfPKT_PKf: ; @_Z23fp32_router_gemm_kernelI14__hip_bfloat16Li128ELi18ELi256ELi3072EEvPfPKT_PKf
; %bb.0:
	s_clause 0x1
	s_load_b128 s[4:7], s[0:1], 0x0
	s_load_b64 s[0:1], s[0:1], 0x10
	v_dual_mov_b32 v22, 0 :: v_dual_lshlrev_b32 v23, 3, v0
	s_mul_i32 s8, s15, 0xc00
	v_dual_mov_b32 v21, 0 :: v_dual_mov_b32 v20, 0
	s_ashr_i32 s9, s8, 31
	s_delay_alu instid0(VALU_DEP_2)
	v_or_b32_e32 v24, 0x400, v23
	s_lshl_b64 s[8:9], s[8:9], 2
	v_or_b32_e32 v25, 0x800, v23
	v_dual_mov_b32 v19, 0 :: v_dual_mov_b32 v18, 0
	v_dual_mov_b32 v17, 0 :: v_dual_mov_b32 v16, 0
	;; [unrolled: 1-line block ×7, first 2 shown]
	v_mov_b32_e32 v5, 0
	s_waitcnt lgkmcnt(0)
	s_add_u32 s0, s0, s8
	s_mov_b32 s2, s15
	s_addc_u32 s1, s1, s9
	s_mov_b64 s[8:9], 0
.LBB49_1:                               ; =>This Inner Loop Header: Depth=1
	s_delay_alu instid0(SALU_CYCLE_1)
	s_cmp_eq_u32 s8, 1
	s_cselect_b32 vcc_lo, -1, 0
	s_cmp_eq_u32 s8, 2
	v_cndmask_b32_e32 v1, v23, v24, vcc_lo
	s_cselect_b32 vcc_lo, -1, 0
	s_add_u32 s8, s8, 1
	s_addc_u32 s9, s9, 0
	s_cmp_eq_u32 s8, 3
	v_cndmask_b32_e32 v26, v1, v25, vcc_lo
	s_delay_alu instid0(VALU_DEP_1) | instskip(NEXT) | instid1(VALU_DEP_1)
	v_lshlrev_b32_e32 v1, 1, v26
	v_add_co_u32 v27, s3, s6, v1
	s_delay_alu instid0(VALU_DEP_1)
	v_add_co_ci_u32_e64 v28, null, s7, 0, s3
	global_load_b128 v[1:4], v1, s[6:7]
	v_add_co_u32 v29, vcc_lo, 0x1000, v27
	v_add_co_ci_u32_e32 v30, vcc_lo, 0, v28, vcc_lo
	v_add_co_u32 v33, vcc_lo, 0x3000, v27
	v_add_co_ci_u32_e32 v34, vcc_lo, 0, v28, vcc_lo
	;; [unrolled: 2-line block ×11, first 2 shown]
	s_clause 0xa
	global_load_b128 v[29:32], v[29:30], off offset:2048
	global_load_b128 v[33:36], v[33:34], off
	global_load_b128 v[37:40], v[37:38], off offset:2048
	global_load_b128 v[41:44], v[41:42], off
	;; [unrolled: 2-line block ×5, first 2 shown]
	global_load_b128 v[69:72], v[69:70], off offset:2048
	s_waitcnt vmcnt(11)
	v_and_b32_e32 v76, 0xffff0000, v2
	v_lshlrev_b32_e32 v75, 16, v2
	s_waitcnt vmcnt(10)
	v_and_b32_e32 v91, 0xffff0000, v29
	v_lshlrev_b32_e32 v92, 16, v30
	v_and_b32_e32 v101, 0xffff0000, v30
	s_waitcnt vmcnt(7)
	v_lshlrev_b32_e32 v84, 16, v41
	v_lshlrev_b32_e32 v81, 16, v29
	s_waitcnt vmcnt(5)
	v_lshlrev_b32_e32 v86, 16, v49
	v_lshlrev_b32_e32 v83, 16, v37
	v_and_b32_e32 v74, 0xffff0000, v1
	v_lshlrev_b32_e32 v73, 16, v1
	v_add_co_u32 v1, vcc_lo, 0x12000, v27
	v_add_co_ci_u32_e32 v2, vcc_lo, 0, v28, vcc_lo
	v_add_co_u32 v29, vcc_lo, 0x13000, v27
	v_add_co_ci_u32_e32 v30, vcc_lo, 0, v28, vcc_lo
	v_lshlrev_b32_e32 v77, 16, v3
	v_and_b32_e32 v78, 0xffff0000, v3
	s_waitcnt vmcnt(3)
	v_lshlrev_b32_e32 v88, 16, v57
	v_lshlrev_b32_e32 v85, 16, v45
	v_and_b32_e32 v80, 0xffff0000, v4
	s_waitcnt vmcnt(1)
	v_lshlrev_b32_e32 v90, 16, v65
	v_lshlrev_b32_e32 v87, 16, v53
	;; [unrolled: 1-line block ×5, first 2 shown]
	v_and_b32_e32 v103, 0xffff0000, v31
	v_lshlrev_b32_e32 v104, 16, v32
	v_and_b32_e32 v65, 0xffff0000, v65
	v_and_b32_e32 v105, 0xffff0000, v32
	s_clause 0x1
	global_load_b128 v[1:4], v[1:2], off
	global_load_b128 v[29:32], v[29:30], off offset:2048
	s_waitcnt vmcnt(1)
	v_lshlrev_b32_e32 v129, 16, v1
	v_and_b32_e32 v130, 0xffff0000, v1
	v_add_co_u32 v1, vcc_lo, 0x15000, v27
	v_lshlrev_b32_e32 v131, 16, v2
	v_and_b32_e32 v132, 0xffff0000, v2
	v_add_co_ci_u32_e32 v2, vcc_lo, 0, v28, vcc_lo
	s_waitcnt vmcnt(0)
	v_lshlrev_b32_e32 v137, 16, v29
	v_and_b32_e32 v138, 0xffff0000, v29
	v_add_co_u32 v29, vcc_lo, 0x16000, v27
	v_lshlrev_b32_e32 v139, 16, v30
	v_and_b32_e32 v140, 0xffff0000, v30
	v_add_co_ci_u32_e32 v30, vcc_lo, 0, v28, vcc_lo
	v_lshlrev_b32_e32 v135, 16, v4
	v_and_b32_e32 v136, 0xffff0000, v4
	v_lshlrev_b32_e32 v141, 16, v31
	v_and_b32_e32 v142, 0xffff0000, v31
	v_and_b32_e32 v134, 0xffff0000, v3
	v_lshlrev_b32_e32 v133, 16, v3
	v_lshlrev_b32_e32 v143, 16, v32
	v_and_b32_e32 v144, 0xffff0000, v32
	s_clause 0x1
	global_load_b128 v[1:4], v[1:2], off
	global_load_b128 v[29:32], v[29:30], off offset:2048
	v_lshlrev_b32_e32 v26, 2, v26
	s_waitcnt vmcnt(1)
	v_lshlrev_b32_e32 v145, 16, v1
	v_and_b32_e32 v146, 0xffff0000, v1
	v_add_co_u32 v1, vcc_lo, 0x18000, v27
	v_lshlrev_b32_e32 v147, 16, v2
	v_and_b32_e32 v148, 0xffff0000, v2
	v_add_co_ci_u32_e32 v2, vcc_lo, 0, v28, vcc_lo
	v_add_co_u32 v27, vcc_lo, 0x19000, v27
	v_add_co_ci_u32_e32 v28, vcc_lo, 0, v28, vcc_lo
	v_lshlrev_b32_e32 v149, 16, v3
	v_and_b32_e32 v150, 0xffff0000, v3
	v_lshlrev_b32_e32 v151, 16, v4
	v_and_b32_e32 v152, 0xffff0000, v4
	s_waitcnt vmcnt(0)
	v_lshlrev_b32_e32 v153, 16, v29
	v_and_b32_e32 v154, 0xffff0000, v29
	v_lshlrev_b32_e32 v155, 16, v30
	v_and_b32_e32 v156, 0xffff0000, v30
	s_clause 0x1
	global_load_b128 v[1:4], v[1:2], off
	global_load_b128 v[27:30], v[27:28], off offset:2048
	s_waitcnt vmcnt(1)
	v_lshlrev_b32_e32 v159, 16, v1
	v_and_b32_e32 v160, 0xffff0000, v1
	v_lshlrev_b32_e32 v161, 16, v2
	v_and_b32_e32 v162, 0xffff0000, v2
	;; [unrolled: 2-line block ×3, first 2 shown]
	s_waitcnt vmcnt(0)
	v_lshlrev_b32_e32 v167, 16, v27
	v_and_b32_e32 v168, 0xffff0000, v27
	v_lshlrev_b32_e32 v169, 16, v28
	v_and_b32_e32 v170, 0xffff0000, v28
	;; [unrolled: 2-line block ×4, first 2 shown]
	v_and_b32_e32 v166, 0xffff0000, v4
	v_lshlrev_b32_e32 v165, 16, v4
	s_clause 0x1
	global_load_b128 v[1:4], v26, s[0:1]
	global_load_b128 v[26:29], v26, s[0:1] offset:16
	v_lshlrev_b32_e32 v93, 16, v34
	v_lshlrev_b32_e32 v96, 16, v46
	;; [unrolled: 1-line block ×4, first 2 shown]
	s_waitcnt vmcnt(1)
	v_dual_fmac_f32 v7, v1, v153 :: v_dual_lshlrev_b32 v98, 16, v54
	v_fmac_f32_e32 v10, v1, v129
	v_fmac_f32_e32 v9, v1, v137
	v_and_b32_e32 v33, 0xffff0000, v33
	v_fmac_f32_e32 v22, v1, v73
	v_fmac_f32_e32 v6, v1, v159
	v_dual_fmac_f32 v10, v2, v130 :: v_dual_and_b32 v41, 0xffff0000, v41
	v_and_b32_e32 v57, 0xffff0000, v57
	v_fmac_f32_e32 v5, v1, v167
	v_fmac_f32_e32 v18, v1, v84
	s_delay_alu instid0(VALU_DEP_4) | instskip(SKIP_2) | instid1(VALU_DEP_3)
	v_dual_fmac_f32 v10, v3, v131 :: v_dual_fmac_f32 v21, v1, v81
	v_dual_fmac_f32 v9, v2, v138 :: v_dual_fmac_f32 v14, v1, v88
	v_fmac_f32_e32 v17, v1, v85
	v_dual_fmac_f32 v8, v1, v145 :: v_dual_fmac_f32 v21, v2, v91
	v_fmac_f32_e32 v16, v1, v86
	;; [unrolled: 2-line block ×3, first 2 shown]
	v_dual_fmac_f32 v6, v2, v160 :: v_dual_lshlrev_b32 v99, 16, v58
	v_fmac_f32_e32 v18, v2, v41
	v_and_b32_e32 v45, 0xffff0000, v45
	v_dual_fmac_f32 v22, v3, v75 :: v_dual_and_b32 v49, 0xffff0000, v49
	s_delay_alu instid0(VALU_DEP_4) | instskip(NEXT) | instid1(VALU_DEP_4)
	v_dual_fmac_f32 v14, v3, v99 :: v_dual_fmac_f32 v7, v2, v154
	v_fmac_f32_e32 v18, v3, v95
	s_delay_alu instid0(VALU_DEP_4) | instskip(SKIP_3) | instid1(VALU_DEP_4)
	v_dual_fmac_f32 v17, v2, v45 :: v_dual_and_b32 v34, 0xffff0000, v34
	v_and_b32_e32 v58, 0xffff0000, v58
	v_fmac_f32_e32 v12, v1, v90
	v_fmac_f32_e32 v15, v1, v87
	v_dual_fmac_f32 v20, v1, v82 :: v_dual_fmac_f32 v17, v3, v96
	v_lshlrev_b32_e32 v97, 16, v50
	v_dual_fmac_f32 v5, v2, v168 :: v_dual_and_b32 v50, 0xffff0000, v50
	v_lshlrev_b32_e32 v108, 16, v39
	v_dual_fmac_f32 v6, v3, v161 :: v_dual_and_b32 v39, 0xffff0000, v39
	v_dual_fmac_f32 v14, v4, v58 :: v_dual_lshlrev_b32 v113, 16, v48
	v_fmac_f32_e32 v22, v4, v76
	v_lshlrev_b32_e32 v109, 16, v40
	v_dual_fmac_f32 v7, v3, v155 :: v_dual_and_b32 v40, 0xffff0000, v40
	v_lshlrev_b32_e32 v118, 16, v59
	v_dual_fmac_f32 v8, v2, v146 :: v_dual_and_b32 v37, 0xffff0000, v37
	v_and_b32_e32 v61, 0xffff0000, v61
	v_dual_fmac_f32 v6, v4, v162 :: v_dual_lshlrev_b32 v117, 16, v56
	v_fmac_f32_e32 v13, v1, v89
	v_dual_fmac_f32 v16, v2, v49 :: v_dual_fmac_f32 v7, v4, v156
	s_waitcnt vmcnt(0)
	v_dual_fmac_f32 v14, v26, v118 :: v_dual_lshlrev_b32 v123, 16, v67
	v_lshlrev_b32_e32 v125, 16, v69
	v_lshlrev_b32_e32 v94, 16, v38
	v_dual_fmac_f32 v19, v2, v37 :: v_dual_lshlrev_b32 v100, 16, v62
	v_dual_fmac_f32 v6, v26, v163 :: v_dual_and_b32 v69, 0xffff0000, v69
	s_delay_alu instid0(VALU_DEP_4)
	v_dual_fmac_f32 v11, v1, v125 :: v_dual_and_b32 v46, 0xffff0000, v46
	v_dual_fmac_f32 v20, v2, v33 :: v_dual_lshlrev_b32 v107, 16, v36
	v_fmac_f32_e32 v16, v3, v97
	v_fmac_f32_e32 v8, v3, v147
	v_dual_fmac_f32 v13, v2, v61 :: v_dual_and_b32 v42, 0xffff0000, v42
	v_dual_fmac_f32 v11, v2, v69 :: v_dual_and_b32 v62, 0xffff0000, v62
	v_dual_fmac_f32 v17, v4, v46 :: v_dual_lshlrev_b32 v112, 16, v47
	v_dual_fmac_f32 v16, v4, v50 :: v_dual_and_b32 v47, 0xffff0000, v47
	s_delay_alu instid0(VALU_DEP_4) | instskip(NEXT) | instid1(VALU_DEP_3)
	v_dual_fmac_f32 v13, v3, v100 :: v_dual_lshlrev_b32 v114, 16, v51
	v_dual_fmac_f32 v17, v26, v112 :: v_dual_lshlrev_b32 v122, 16, v66
	v_dual_fmac_f32 v21, v3, v92 :: v_dual_and_b32 v54, 0xffff0000, v54
	s_delay_alu instid0(VALU_DEP_3) | instskip(NEXT) | instid1(VALU_DEP_4)
	v_fmac_f32_e32 v13, v4, v62
	v_fmac_f32_e32 v16, v26, v114
	;; [unrolled: 1-line block ×3, first 2 shown]
	v_and_b32_e32 v53, 0xffff0000, v53
	v_dual_fmac_f32 v9, v3, v139 :: v_dual_and_b32 v36, 0xffff0000, v36
	v_lshlrev_b32_e32 v116, 16, v55
	s_delay_alu instid0(VALU_DEP_4) | instskip(NEXT) | instid1(VALU_DEP_4)
	v_fmac_f32_e32 v12, v3, v122
	v_dual_fmac_f32 v15, v2, v53 :: v_dual_and_b32 v38, 0xffff0000, v38
	s_delay_alu instid0(VALU_DEP_4) | instskip(SKIP_2) | instid1(VALU_DEP_4)
	v_fmac_f32_e32 v9, v4, v140
	v_fmac_f32_e32 v17, v27, v47
	v_dual_fmac_f32 v10, v4, v132 :: v_dual_and_b32 v55, 0xffff0000, v55
	v_dual_fmac_f32 v15, v3, v98 :: v_dual_and_b32 v48, 0xffff0000, v48
	v_fmac_f32_e32 v19, v3, v94
	s_delay_alu instid0(VALU_DEP_4) | instskip(SKIP_1) | instid1(VALU_DEP_4)
	v_fmac_f32_e32 v17, v28, v113
	v_dual_fmac_f32 v8, v4, v148 :: v_dual_and_b32 v59, 0xffff0000, v59
	v_fmac_f32_e32 v15, v4, v54
	v_and_b32_e32 v66, 0xffff0000, v66
	v_dual_fmac_f32 v18, v4, v42 :: v_dual_lshlrev_b32 v111, 16, v44
	v_dual_fmac_f32 v19, v4, v38 :: v_dual_and_b32 v44, 0xffff0000, v44
	s_delay_alu instid0(VALU_DEP_4) | instskip(NEXT) | instid1(VALU_DEP_4)
	v_fmac_f32_e32 v15, v26, v116
	v_dual_fmac_f32 v12, v4, v66 :: v_dual_and_b32 v51, 0xffff0000, v51
	v_dual_fmac_f32 v10, v26, v133 :: v_dual_and_b32 v67, 0xffff0000, v67
	v_dual_fmac_f32 v8, v26, v149 :: v_dual_lshlrev_b32 v127, 16, v71
	v_dual_fmac_f32 v5, v3, v169 :: v_dual_lshlrev_b32 v120, 16, v63
	v_fmac_f32_e32 v19, v26, v108
	v_fmac_f32_e32 v12, v26, v123
	v_dual_fmac_f32 v15, v27, v55 :: v_dual_lshlrev_b32 v126, 16, v70
	s_delay_alu instid0(VALU_DEP_4) | instskip(SKIP_1) | instid1(VALU_DEP_3)
	v_dual_fmac_f32 v13, v26, v120 :: v_dual_lshlrev_b32 v106, 16, v35
	v_dual_fmac_f32 v20, v3, v93 :: v_dual_and_b32 v35, 0xffff0000, v35
	v_dual_fmac_f32 v12, v27, v67 :: v_dual_fmac_f32 v15, v28, v117
	v_fmac_f32_e32 v8, v27, v150
	v_dual_fmac_f32 v9, v26, v141 :: v_dual_lshlrev_b32 v124, 16, v68
	v_fmac_f32_e32 v17, v29, v48
	v_fmac_f32_e32 v6, v27, v164
	v_dual_fmac_f32 v21, v4, v101 :: v_dual_lshlrev_b32 v110, 16, v43
	v_dual_fmac_f32 v20, v4, v34 :: v_dual_and_b32 v43, 0xffff0000, v43
	s_delay_alu instid0(VALU_DEP_3) | instskip(SKIP_1) | instid1(VALU_DEP_3)
	v_dual_fmac_f32 v6, v28, v165 :: v_dual_lshlrev_b32 v157, 16, v31
	v_dual_fmac_f32 v11, v3, v126 :: v_dual_and_b32 v68, 0xffff0000, v68
	v_dual_fmac_f32 v20, v26, v106 :: v_dual_and_b32 v63, 0xffff0000, v63
	v_fmac_f32_e32 v12, v28, v124
	v_dual_fmac_f32 v5, v4, v170 :: v_dual_and_b32 v56, 0xffff0000, v56
	v_dual_fmac_f32 v18, v26, v110 :: v_dual_lshlrev_b32 v121, 16, v64
	v_fmac_f32_e32 v7, v26, v157
	s_delay_alu instid0(VALU_DEP_4) | instskip(NEXT) | instid1(VALU_DEP_4)
	v_dual_fmac_f32 v13, v27, v63 :: v_dual_fmac_f32 v12, v29, v68
	v_dual_fmac_f32 v5, v26, v171 :: v_dual_and_b32 v70, 0xffff0000, v70
	v_dual_fmac_f32 v22, v26, v77 :: v_dual_lshlrev_b32 v115, 16, v52
	s_delay_alu instid0(VALU_DEP_2) | instskip(NEXT) | instid1(VALU_DEP_4)
	v_dual_fmac_f32 v11, v4, v70 :: v_dual_and_b32 v52, 0xffff0000, v52
	v_dual_fmac_f32 v13, v28, v121 :: v_dual_and_b32 v64, 0xffff0000, v64
	s_delay_alu instid0(VALU_DEP_3) | instskip(SKIP_1) | instid1(VALU_DEP_4)
	v_fmac_f32_e32 v22, v27, v78
	v_fmac_f32_e32 v20, v27, v35
	;; [unrolled: 1-line block ×3, first 2 shown]
	v_lshlrev_b32_e32 v119, 16, v60
	s_delay_alu instid0(VALU_DEP_4)
	v_dual_fmac_f32 v13, v29, v64 :: v_dual_fmac_f32 v22, v28, v79
	v_fmac_f32_e32 v5, v27, v172
	v_fmac_f32_e32 v9, v27, v142
	;; [unrolled: 1-line block ×3, first 2 shown]
	v_dual_fmac_f32 v21, v26, v102 :: v_dual_and_b32 v60, 0xffff0000, v60
	v_dual_fmac_f32 v22, v29, v80 :: v_dual_and_b32 v71, 0xffff0000, v71
	v_fmac_f32_e32 v16, v27, v51
	v_fmac_f32_e32 v20, v28, v107
	v_and_b32_e32 v31, 0xffff0000, v31
	v_fmac_f32_e32 v10, v28, v135
	v_dual_fmac_f32 v21, v27, v103 :: v_dual_lshlrev_b32 v128, 16, v72
	v_dual_fmac_f32 v19, v27, v39 :: v_dual_and_b32 v72, 0xffff0000, v72
	v_fmac_f32_e32 v18, v27, v43
	v_fmac_f32_e32 v14, v27, v59
	v_dual_fmac_f32 v11, v27, v71 :: v_dual_fmac_f32 v20, v29, v36
	v_dual_fmac_f32 v7, v27, v31 :: v_dual_fmac_f32 v10, v29, v136
	v_dual_fmac_f32 v5, v28, v173 :: v_dual_lshlrev_b32 v158, 16, v32
	v_and_b32_e32 v32, 0xffff0000, v32
	v_fmac_f32_e32 v21, v28, v104
	v_fmac_f32_e32 v19, v28, v109
	s_delay_alu instid0(VALU_DEP_4)
	v_fmac_f32_e32 v7, v28, v158
	v_fmac_f32_e32 v18, v28, v111
	;; [unrolled: 1-line block ×6, first 2 shown]
	v_dual_fmac_f32 v8, v28, v151 :: v_dual_fmac_f32 v21, v29, v105
	v_fmac_f32_e32 v19, v29, v40
	v_fmac_f32_e32 v18, v29, v44
	;; [unrolled: 1-line block ×11, first 2 shown]
	s_cbranch_scc0 .LBB49_1
; %bb.2:
	v_mbcnt_lo_u32_b32 v23, -1, 0
	v_lshrrev_b32_e32 v26, 5, v0
	s_delay_alu instid0(VALU_DEP_2) | instskip(SKIP_2) | instid1(VALU_DEP_3)
	v_xor_b32_e32 v1, 16, v23
	v_xor_b32_e32 v2, 8, v23
	;; [unrolled: 1-line block ×3, first 2 shown]
	v_cmp_gt_i32_e32 vcc_lo, 32, v1
	v_cndmask_b32_e32 v1, v23, v1, vcc_lo
	s_delay_alu instid0(VALU_DEP_4) | instskip(SKIP_1) | instid1(VALU_DEP_1)
	v_cmp_gt_i32_e32 vcc_lo, 32, v2
	v_cndmask_b32_e32 v2, v23, v2, vcc_lo
	v_lshlrev_b32_e32 v2, 2, v2
	s_delay_alu instid0(VALU_DEP_4)
	v_lshlrev_b32_e32 v1, 2, v1
	ds_bpermute_b32 v3, v1, v22
	s_waitcnt lgkmcnt(0)
	v_add_f32_e32 v4, v22, v3
	v_xor_b32_e32 v3, 4, v23
	ds_bpermute_b32 v22, v2, v4
	v_cmp_gt_i32_e32 vcc_lo, 32, v3
	s_waitcnt lgkmcnt(0)
	v_dual_cndmask_b32 v3, v23, v3 :: v_dual_add_f32 v22, v4, v22
	s_delay_alu instid0(VALU_DEP_1)
	v_lshlrev_b32_e32 v3, 2, v3
	v_xor_b32_e32 v4, 2, v23
	ds_bpermute_b32 v24, v3, v22
	v_cmp_gt_i32_e32 vcc_lo, 32, v4
	v_cndmask_b32_e32 v4, v23, v4, vcc_lo
	v_cmp_gt_i32_e32 vcc_lo, 32, v25
	v_cndmask_b32_e32 v23, v23, v25, vcc_lo
	s_delay_alu instid0(VALU_DEP_1) | instskip(NEXT) | instid1(VALU_DEP_4)
	v_lshlrev_b32_e32 v23, 2, v23
	v_lshlrev_b32_e32 v4, 2, v4
	s_waitcnt lgkmcnt(0)
	v_add_f32_e32 v22, v22, v24
	ds_bpermute_b32 v24, v4, v22
	s_waitcnt lgkmcnt(0)
	v_add_f32_e32 v24, v22, v24
	v_and_b32_e32 v22, 31, v0
	ds_bpermute_b32 v25, v23, v24
	v_cmp_eq_u32_e32 vcc_lo, 0, v22
	v_lshlrev_b32_e32 v22, 2, v26
	s_and_saveexec_b32 s0, vcc_lo
	s_cbranch_execz .LBB49_4
; %bb.3:
	s_waitcnt lgkmcnt(0)
	v_add_f32_e32 v24, v24, v25
	ds_store_b32 v22, v24
.LBB49_4:
	s_or_b32 exec_lo, exec_lo, s0
	ds_bpermute_b32 v24, v1, v21
	s_waitcnt lgkmcnt(0)
	v_add_f32_e32 v21, v21, v24
	ds_bpermute_b32 v24, v2, v21
	s_waitcnt lgkmcnt(0)
	v_add_f32_e32 v21, v21, v24
	ds_bpermute_b32 v24, v3, v21
	s_waitcnt lgkmcnt(0)
	v_add_f32_e32 v21, v21, v24
	ds_bpermute_b32 v24, v4, v21
	s_waitcnt lgkmcnt(0)
	v_add_f32_e32 v21, v21, v24
	ds_bpermute_b32 v24, v23, v21
	s_and_saveexec_b32 s0, vcc_lo
	s_cbranch_execz .LBB49_6
; %bb.5:
	s_waitcnt lgkmcnt(0)
	v_add_f32_e32 v21, v21, v24
	ds_store_b32 v22, v21 offset:16
.LBB49_6:
	s_or_b32 exec_lo, exec_lo, s0
	ds_bpermute_b32 v21, v1, v20
	s_waitcnt lgkmcnt(0)
	v_add_f32_e32 v20, v20, v21
	ds_bpermute_b32 v21, v2, v20
	s_waitcnt lgkmcnt(0)
	v_add_f32_e32 v20, v20, v21
	ds_bpermute_b32 v21, v3, v20
	s_waitcnt lgkmcnt(0)
	v_add_f32_e32 v20, v20, v21
	ds_bpermute_b32 v21, v4, v20
	s_waitcnt lgkmcnt(0)
	v_add_f32_e32 v20, v20, v21
	ds_bpermute_b32 v21, v23, v20
	s_and_saveexec_b32 s0, vcc_lo
	s_cbranch_execz .LBB49_8
; %bb.7:
	s_waitcnt lgkmcnt(0)
	v_add_f32_e32 v20, v20, v21
	ds_store_b32 v22, v20 offset:32
.LBB49_8:
	;; [unrolled: 21-line block ×17, first 2 shown]
	s_or_b32 exec_lo, exec_lo, s0
	s_waitcnt lgkmcnt(0)
	s_barrier
	buffer_gl0_inv
	s_mov_b32 s0, exec_lo
	v_cmpx_eq_u32_e32 0, v0
	s_cbranch_execz .LBB49_40
; %bb.39:
	v_mov_b32_e32 v36, 0
	s_ashr_i32 s3, s2, 31
	ds_load_b128 v[0:3], v36
	ds_load_b128 v[4:7], v36 offset:16
	ds_load_b128 v[8:11], v36 offset:32
	;; [unrolled: 1-line block ×7, first 2 shown]
	s_lshl_b64 s[0:1], s[2:3], 2
	s_delay_alu instid0(SALU_CYCLE_1)
	s_add_u32 s0, s4, s0
	s_addc_u32 s1, s5, s1
	s_waitcnt lgkmcnt(4)
	v_add_f32_e32 v12, 0, v12
	v_add_f32_e32 v0, 0, v0
	s_waitcnt lgkmcnt(3)
	v_add_f32_e32 v16, 0, v16
	s_waitcnt lgkmcnt(0)
	v_add_f32_e32 v28, 0, v28
	v_add_f32_e32 v8, 0, v8
	;; [unrolled: 1-line block ×3, first 2 shown]
	s_delay_alu instid0(VALU_DEP_1) | instskip(SKIP_2) | instid1(VALU_DEP_1)
	v_add_f32_e32 v0, v0, v2
	v_add_f32_e32 v20, 0, v20
	;; [unrolled: 1-line block ×4, first 2 shown]
	ds_load_b128 v[32:35], v36 offset:128
	v_add_f32_e32 v1, v1, v6
	v_add_f32_e32 v5, v12, v13
	;; [unrolled: 1-line block ×7, first 2 shown]
	s_delay_alu instid0(VALU_DEP_4) | instskip(SKIP_2) | instid1(VALU_DEP_4)
	v_add_f32_e32 v2, v4, v10
	v_add_f32_e32 v4, v5, v14
	v_dual_add_f32 v5, v8, v18 :: v_dual_add_f32 v24, 0, v24
	v_add_f32_e32 v16, v9, v22
	v_add_f32_e32 v18, v1, v7
	;; [unrolled: 1-line block ×5, first 2 shown]
	ds_load_b128 v[0:3], v36 offset:144
	ds_load_b128 v[4:7], v36 offset:160
	;; [unrolled: 1-line block ×3, first 2 shown]
	s_waitcnt lgkmcnt(2)
	v_add_f32_e32 v0, 0, v0
	s_waitcnt lgkmcnt(1)
	v_add_f32_e32 v4, 0, v4
	;; [unrolled: 2-line block ×3, first 2 shown]
	v_add_f32_e32 v0, v0, v1
	s_delay_alu instid0(VALU_DEP_3) | instskip(NEXT) | instid1(VALU_DEP_3)
	v_add_f32_e32 v1, v4, v5
	v_add_f32_e32 v4, v8, v9
	;; [unrolled: 1-line block ×3, first 2 shown]
	s_delay_alu instid0(VALU_DEP_4) | instskip(NEXT) | instid1(VALU_DEP_4)
	v_add_f32_e32 v0, v0, v2
	v_dual_add_f32 v1, v1, v6 :: v_dual_add_f32 v12, v24, v25
	v_dual_add_f32 v24, v13, v30 :: v_dual_add_f32 v25, 0, v32
	s_delay_alu instid0(VALU_DEP_2) | instskip(NEXT) | instid1(VALU_DEP_3)
	v_dual_add_f32 v2, v4, v10 :: v_dual_add_f32 v1, v1, v7
	v_add_f32_e32 v22, v12, v26
	ds_load_b128 v[12:15], v36 offset:192
	v_add_f32_e32 v0, v0, v3
	v_mov_b32_e32 v26, 0x1000
	v_add_f32_e32 v2, v2, v11
	v_add_f32_e32 v22, v22, v27
	v_mov_b32_e32 v6, 0x3000
	s_waitcnt lgkmcnt(0)
	v_add_f32_e32 v12, 0, v12
	s_delay_alu instid0(VALU_DEP_1) | instskip(NEXT) | instid1(VALU_DEP_1)
	v_dual_add_f32 v5, v12, v13 :: v_dual_mov_b32 v12, 0x4000
	v_dual_add_f32 v4, v5, v14 :: v_dual_mov_b32 v5, 0x2000
	s_delay_alu instid0(VALU_DEP_1)
	v_add_f32_e32 v3, v4, v15
	v_dual_add_f32 v23, v24, v31 :: v_dual_add_f32 v24, v25, v33
	s_clause 0x7
	global_store_b32 v36, v17, s[0:1]
	global_store_b32 v36, v18, s[0:1] offset:1024
	global_store_b32 v36, v20, s[0:1] offset:2048
	;; [unrolled: 1-line block ×3, first 2 shown]
	global_store_b32 v26, v19, s[0:1]
	global_store_b32 v26, v16, s[0:1] offset:1024
	global_store_b32 v26, v22, s[0:1] offset:2048
	;; [unrolled: 1-line block ×3, first 2 shown]
	ds_load_b128 v[16:19], v36 offset:208
	v_add_f32_e32 v32, v24, v34
	ds_load_b128 v[20:23], v36 offset:224
	ds_load_b128 v[24:27], v36 offset:240
	;; [unrolled: 1-line block ×4, first 2 shown]
	s_waitcnt lgkmcnt(4)
	v_add_f32_e32 v4, 0, v16
	s_waitcnt lgkmcnt(3)
	v_add_f32_e32 v7, 0, v20
	;; [unrolled: 2-line block ×4, first 2 shown]
	s_waitcnt lgkmcnt(0)
	v_dual_add_f32 v11, 0, v36 :: v_dual_add_f32 v4, v4, v17
	v_add_f32_e32 v7, v7, v21
	v_add_f32_e32 v9, v9, v25
	;; [unrolled: 1-line block ×3, first 2 shown]
	s_delay_alu instid0(VALU_DEP_4) | instskip(NEXT) | instid1(VALU_DEP_4)
	v_dual_add_f32 v11, v11, v37 :: v_dual_add_f32 v4, v4, v18
	v_add_f32_e32 v7, v7, v22
	s_delay_alu instid0(VALU_DEP_4) | instskip(NEXT) | instid1(VALU_DEP_4)
	v_add_f32_e32 v9, v9, v26
	v_add_f32_e32 v10, v10, v30
	s_delay_alu instid0(VALU_DEP_4) | instskip(NEXT) | instid1(VALU_DEP_4)
	v_dual_add_f32 v11, v11, v38 :: v_dual_add_f32 v4, v4, v19
	v_add_f32_e32 v7, v7, v23
	v_add_f32_e32 v8, v32, v35
	;; [unrolled: 1-line block ×5, first 2 shown]
	s_clause 0x9
	global_store_b32 v5, v8, s[0:1]
	global_store_b32 v5, v0, s[0:1] offset:1024
	global_store_b32 v5, v1, s[0:1] offset:2048
	global_store_b32 v5, v2, s[0:1] offset:3072
	global_store_b32 v6, v3, s[0:1]
	global_store_b32 v6, v4, s[0:1] offset:1024
	global_store_b32 v6, v7, s[0:1] offset:2048
	;; [unrolled: 1-line block ×3, first 2 shown]
	global_store_b32 v12, v10, s[0:1]
	global_store_b32 v12, v11, s[0:1] offset:1024
.LBB49_40:
	s_nop 0
	s_sendmsg sendmsg(MSG_DEALLOC_VGPRS)
	s_endpgm
	.section	.rodata,"a",@progbits
	.p2align	6, 0x0
	.amdhsa_kernel _Z23fp32_router_gemm_kernelI14__hip_bfloat16Li128ELi18ELi256ELi3072EEvPfPKT_PKf
		.amdhsa_group_segment_fixed_size 288
		.amdhsa_private_segment_fixed_size 0
		.amdhsa_kernarg_size 24
		.amdhsa_user_sgpr_count 15
		.amdhsa_user_sgpr_dispatch_ptr 0
		.amdhsa_user_sgpr_queue_ptr 0
		.amdhsa_user_sgpr_kernarg_segment_ptr 1
		.amdhsa_user_sgpr_dispatch_id 0
		.amdhsa_user_sgpr_private_segment_size 0
		.amdhsa_wavefront_size32 1
		.amdhsa_uses_dynamic_stack 0
		.amdhsa_enable_private_segment 0
		.amdhsa_system_sgpr_workgroup_id_x 1
		.amdhsa_system_sgpr_workgroup_id_y 0
		.amdhsa_system_sgpr_workgroup_id_z 0
		.amdhsa_system_sgpr_workgroup_info 0
		.amdhsa_system_vgpr_workitem_id 0
		.amdhsa_next_free_vgpr 174
		.amdhsa_next_free_sgpr 16
		.amdhsa_reserve_vcc 1
		.amdhsa_float_round_mode_32 0
		.amdhsa_float_round_mode_16_64 0
		.amdhsa_float_denorm_mode_32 3
		.amdhsa_float_denorm_mode_16_64 3
		.amdhsa_dx10_clamp 1
		.amdhsa_ieee_mode 1
		.amdhsa_fp16_overflow 0
		.amdhsa_workgroup_processor_mode 1
		.amdhsa_memory_ordered 1
		.amdhsa_forward_progress 0
		.amdhsa_shared_vgpr_count 0
		.amdhsa_exception_fp_ieee_invalid_op 0
		.amdhsa_exception_fp_denorm_src 0
		.amdhsa_exception_fp_ieee_div_zero 0
		.amdhsa_exception_fp_ieee_overflow 0
		.amdhsa_exception_fp_ieee_underflow 0
		.amdhsa_exception_fp_ieee_inexact 0
		.amdhsa_exception_int_div_zero 0
	.end_amdhsa_kernel
	.section	.text._Z23fp32_router_gemm_kernelI14__hip_bfloat16Li128ELi18ELi256ELi3072EEvPfPKT_PKf,"axG",@progbits,_Z23fp32_router_gemm_kernelI14__hip_bfloat16Li128ELi18ELi256ELi3072EEvPfPKT_PKf,comdat
.Lfunc_end49:
	.size	_Z23fp32_router_gemm_kernelI14__hip_bfloat16Li128ELi18ELi256ELi3072EEvPfPKT_PKf, .Lfunc_end49-_Z23fp32_router_gemm_kernelI14__hip_bfloat16Li128ELi18ELi256ELi3072EEvPfPKT_PKf
                                        ; -- End function
	.section	.AMDGPU.csdata,"",@progbits
; Kernel info:
; codeLenInByte = 4936
; NumSgprs: 18
; NumVgprs: 174
; ScratchSize: 0
; MemoryBound: 0
; FloatMode: 240
; IeeeMode: 1
; LDSByteSize: 288 bytes/workgroup (compile time only)
; SGPRBlocks: 2
; VGPRBlocks: 21
; NumSGPRsForWavesPerEU: 18
; NumVGPRsForWavesPerEU: 174
; Occupancy: 8
; WaveLimiterHint : 1
; COMPUTE_PGM_RSRC2:SCRATCH_EN: 0
; COMPUTE_PGM_RSRC2:USER_SGPR: 15
; COMPUTE_PGM_RSRC2:TRAP_HANDLER: 0
; COMPUTE_PGM_RSRC2:TGID_X_EN: 1
; COMPUTE_PGM_RSRC2:TGID_Y_EN: 0
; COMPUTE_PGM_RSRC2:TGID_Z_EN: 0
; COMPUTE_PGM_RSRC2:TIDIG_COMP_CNT: 0
	.section	.text._Z23fp32_router_gemm_kernelI14__hip_bfloat16Li128ELi19ELi256ELi3072EEvPfPKT_PKf,"axG",@progbits,_Z23fp32_router_gemm_kernelI14__hip_bfloat16Li128ELi19ELi256ELi3072EEvPfPKT_PKf,comdat
	.protected	_Z23fp32_router_gemm_kernelI14__hip_bfloat16Li128ELi19ELi256ELi3072EEvPfPKT_PKf ; -- Begin function _Z23fp32_router_gemm_kernelI14__hip_bfloat16Li128ELi19ELi256ELi3072EEvPfPKT_PKf
	.globl	_Z23fp32_router_gemm_kernelI14__hip_bfloat16Li128ELi19ELi256ELi3072EEvPfPKT_PKf
	.p2align	8
	.type	_Z23fp32_router_gemm_kernelI14__hip_bfloat16Li128ELi19ELi256ELi3072EEvPfPKT_PKf,@function
_Z23fp32_router_gemm_kernelI14__hip_bfloat16Li128ELi19ELi256ELi3072EEvPfPKT_PKf: ; @_Z23fp32_router_gemm_kernelI14__hip_bfloat16Li128ELi19ELi256ELi3072EEvPfPKT_PKf
; %bb.0:
	s_clause 0x1
	s_load_b128 s[4:7], s[0:1], 0x0
	s_load_b64 s[0:1], s[0:1], 0x10
	v_dual_mov_b32 v25, 0 :: v_dual_lshlrev_b32 v26, 3, v0
	s_mul_i32 s8, s15, 0xc00
	v_dual_mov_b32 v24, 0 :: v_dual_mov_b32 v23, 0
	s_ashr_i32 s9, s8, 31
	s_delay_alu instid0(VALU_DEP_2)
	v_or_b32_e32 v27, 0x400, v26
	s_lshl_b64 s[8:9], s[8:9], 2
	v_or_b32_e32 v28, 0x800, v26
	v_dual_mov_b32 v22, 0 :: v_dual_mov_b32 v21, 0
	v_dual_mov_b32 v20, 0 :: v_dual_mov_b32 v19, 0
	;; [unrolled: 1-line block ×8, first 2 shown]
	s_waitcnt lgkmcnt(0)
	s_add_u32 s0, s0, s8
	s_mov_b32 s2, s15
	s_addc_u32 s1, s1, s9
	s_mov_b64 s[8:9], 0
.LBB50_1:                               ; =>This Inner Loop Header: Depth=1
	s_delay_alu instid0(SALU_CYCLE_1)
	s_cmp_eq_u32 s8, 1
	s_cselect_b32 vcc_lo, -1, 0
	s_cmp_eq_u32 s8, 2
	v_cndmask_b32_e32 v1, v26, v27, vcc_lo
	s_cselect_b32 vcc_lo, -1, 0
	s_add_u32 s8, s8, 1
	s_addc_u32 s9, s9, 0
	s_cmp_eq_u32 s8, 3
	v_cndmask_b32_e32 v29, v1, v28, vcc_lo
	s_delay_alu instid0(VALU_DEP_1) | instskip(NEXT) | instid1(VALU_DEP_1)
	v_lshlrev_b32_e32 v1, 1, v29
	v_add_co_u32 v30, s3, s6, v1
	s_delay_alu instid0(VALU_DEP_1)
	v_add_co_ci_u32_e64 v31, null, s7, 0, s3
	global_load_b128 v[1:4], v1, s[6:7]
	v_add_co_u32 v5, vcc_lo, 0x1000, v30
	v_add_co_ci_u32_e32 v6, vcc_lo, 0, v31, vcc_lo
	v_add_co_u32 v36, vcc_lo, 0x3000, v30
	v_add_co_ci_u32_e32 v37, vcc_lo, 0, v31, vcc_lo
	;; [unrolled: 2-line block ×11, first 2 shown]
	s_clause 0xa
	global_load_b128 v[32:35], v[5:6], off offset:2048
	global_load_b128 v[36:39], v[36:37], off
	global_load_b128 v[40:43], v[40:41], off offset:2048
	global_load_b128 v[44:47], v[44:45], off
	;; [unrolled: 2-line block ×5, first 2 shown]
	global_load_b128 v[72:75], v[72:73], off offset:2048
	s_waitcnt vmcnt(11)
	v_lshlrev_b32_e32 v76, 16, v1
	v_lshlrev_b32_e32 v78, 16, v2
	v_lshlrev_b32_e32 v80, 16, v3
	v_lshlrev_b32_e32 v29, 2, v29
	s_waitcnt vmcnt(10)
	v_lshlrev_b32_e32 v84, 16, v32
	v_and_b32_e32 v77, 0xffff0000, v1
	v_add_co_u32 v1, vcc_lo, 0x12000, v30
	s_waitcnt vmcnt(6)
	v_lshlrev_b32_e32 v88, 16, v48
	v_and_b32_e32 v79, 0xffff0000, v2
	v_add_co_ci_u32_e32 v2, vcc_lo, 0, v31, vcc_lo
	v_add_co_u32 v5, vcc_lo, 0x13000, v30
	v_add_co_ci_u32_e32 v6, vcc_lo, 0, v31, vcc_lo
	v_lshlrev_b32_e32 v82, 16, v4
	v_lshlrev_b32_e32 v86, 16, v40
	v_and_b32_e32 v81, 0xffff0000, v3
	s_waitcnt vmcnt(4)
	v_lshlrev_b32_e32 v90, 16, v56
	v_and_b32_e32 v83, 0xffff0000, v4
	v_and_b32_e32 v93, 0xffff0000, v32
	;; [unrolled: 1-line block ×3, first 2 shown]
	v_lshlrev_b32_e32 v104, 16, v34
	v_lshlrev_b32_e32 v106, 16, v35
	v_and_b32_e32 v107, 0xffff0000, v35
	s_waitcnt vmcnt(1)
	v_lshlrev_b32_e32 v124, 16, v68
	v_lshlrev_b32_e32 v94, 16, v33
	s_waitcnt vmcnt(0)
	v_lshlrev_b32_e32 v129, 16, v73
	v_and_b32_e32 v105, 0xffff0000, v34
	s_clause 0x1
	global_load_b128 v[1:4], v[1:2], off
	global_load_b128 v[32:35], v[5:6], off offset:2048
	s_waitcnt vmcnt(1)
	v_lshlrev_b32_e32 v132, 16, v1
	v_and_b32_e32 v133, 0xffff0000, v1
	v_add_co_u32 v1, vcc_lo, 0x15000, v30
	v_lshlrev_b32_e32 v136, 16, v3
	v_lshlrev_b32_e32 v134, 16, v2
	s_waitcnt vmcnt(0)
	v_and_b32_e32 v145, 0xffff0000, v34
	v_and_b32_e32 v135, 0xffff0000, v2
	v_add_co_ci_u32_e32 v2, vcc_lo, 0, v31, vcc_lo
	v_add_co_u32 v5, vcc_lo, 0x16000, v30
	v_add_co_ci_u32_e32 v6, vcc_lo, 0, v31, vcc_lo
	v_and_b32_e32 v137, 0xffff0000, v3
	v_lshlrev_b32_e32 v138, 16, v4
	v_and_b32_e32 v139, 0xffff0000, v4
	v_lshlrev_b32_e32 v140, 16, v32
	;; [unrolled: 2-line block ×4, first 2 shown]
	v_lshlrev_b32_e32 v146, 16, v35
	v_and_b32_e32 v147, 0xffff0000, v35
	s_clause 0x1
	global_load_b128 v[1:4], v[1:2], off
	global_load_b128 v[32:35], v[5:6], off offset:2048
	s_waitcnt vmcnt(1)
	v_lshlrev_b32_e32 v148, 16, v1
	v_and_b32_e32 v149, 0xffff0000, v1
	v_add_co_u32 v1, vcc_lo, 0x18000, v30
	v_lshlrev_b32_e32 v150, 16, v2
	v_and_b32_e32 v151, 0xffff0000, v2
	v_add_co_ci_u32_e32 v2, vcc_lo, 0, v31, vcc_lo
	v_add_co_u32 v5, vcc_lo, 0x19000, v30
	v_add_co_ci_u32_e32 v6, vcc_lo, 0, v31, vcc_lo
	v_lshlrev_b32_e32 v152, 16, v3
	v_lshlrev_b32_e32 v154, 16, v4
	v_and_b32_e32 v155, 0xffff0000, v4
	s_waitcnt vmcnt(0)
	v_lshlrev_b32_e32 v156, 16, v32
	v_and_b32_e32 v157, 0xffff0000, v32
	v_lshlrev_b32_e32 v158, 16, v33
	v_and_b32_e32 v159, 0xffff0000, v33
	v_and_b32_e32 v161, 0xffff0000, v34
	v_lshlrev_b32_e32 v162, 16, v35
	v_and_b32_e32 v153, 0xffff0000, v3
	v_lshlrev_b32_e32 v160, 16, v34
	v_and_b32_e32 v163, 0xffff0000, v35
	s_clause 0x1
	global_load_b128 v[1:4], v[1:2], off
	global_load_b128 v[32:35], v[5:6], off offset:2048
	s_waitcnt vmcnt(1)
	v_lshlrev_b32_e32 v5, 16, v1
	v_and_b32_e32 v6, 0xffff0000, v1
	v_add_co_u32 v1, vcc_lo, 0x1b000, v30
	v_lshlrev_b32_e32 v164, 16, v2
	v_and_b32_e32 v165, 0xffff0000, v2
	v_add_co_ci_u32_e32 v2, vcc_lo, 0, v31, vcc_lo
	v_lshlrev_b32_e32 v166, 16, v3
	v_and_b32_e32 v167, 0xffff0000, v3
	v_lshlrev_b32_e32 v168, 16, v4
	v_and_b32_e32 v169, 0xffff0000, v4
	global_load_b128 v[1:4], v[1:2], off
	s_waitcnt vmcnt(1)
	v_lshlrev_b32_e32 v170, 16, v32
	v_and_b32_e32 v171, 0xffff0000, v32
	s_waitcnt vmcnt(0)
	v_lshlrev_b32_e32 v175, 16, v1
	v_and_b32_e32 v176, 0xffff0000, v1
	v_lshlrev_b32_e32 v177, 16, v2
	v_lshlrev_b32_e32 v179, 16, v3
	v_and_b32_e32 v180, 0xffff0000, v3
	v_lshlrev_b32_e32 v181, 16, v4
	v_and_b32_e32 v178, 0xffff0000, v2
	v_and_b32_e32 v182, 0xffff0000, v4
	s_clause 0x1
	global_load_b128 v[1:4], v29, s[0:1]
	global_load_b128 v[29:32], v29, s[0:1] offset:16
	v_lshlrev_b32_e32 v85, 16, v36
	v_lshlrev_b32_e32 v96, 16, v41
	;; [unrolled: 1-line block ×4, first 2 shown]
	v_and_b32_e32 v36, 0xffff0000, v36
	v_and_b32_e32 v40, 0xffff0000, v40
	v_lshlrev_b32_e32 v101, 16, v61
	v_lshlrev_b32_e32 v173, 16, v34
	s_waitcnt vmcnt(1)
	v_fmac_f32_e32 v13, v1, v132
	v_fmac_f32_e32 v12, v1, v140
	v_lshlrev_b32_e32 v89, 16, v52
	v_fmac_f32_e32 v11, v1, v148
	v_fmac_f32_e32 v8, v1, v170
	v_dual_fmac_f32 v13, v2, v133 :: v_dual_and_b32 v48, 0xffff0000, v48
	s_delay_alu instid0(VALU_DEP_3)
	v_dual_fmac_f32 v11, v2, v149 :: v_dual_and_b32 v52, 0xffff0000, v52
	v_fmac_f32_e32 v25, v1, v76
	v_fmac_f32_e32 v24, v1, v84
	;; [unrolled: 1-line block ×3, first 2 shown]
	v_lshlrev_b32_e32 v91, 16, v60
	v_dual_fmac_f32 v9, v1, v5 :: v_dual_and_b32 v56, 0xffff0000, v56
	v_dual_fmac_f32 v7, v1, v175 :: v_dual_fmac_f32 v12, v2, v141
	v_fmac_f32_e32 v19, v1, v89
	s_delay_alu instid0(VALU_DEP_3)
	v_fmac_f32_e32 v9, v2, v6
	v_fmac_f32_e32 v18, v1, v90
	v_dual_fmac_f32 v8, v2, v171 :: v_dual_lshlrev_b32 v87, 16, v44
	v_fmac_f32_e32 v24, v2, v93
	v_dual_fmac_f32 v11, v3, v150 :: v_dual_and_b32 v68, 0xffff0000, v68
	v_fmac_f32_e32 v25, v2, v77
	v_fmac_f32_e32 v23, v1, v85
	v_lshlrev_b32_e32 v100, 16, v57
	v_fmac_f32_e32 v22, v1, v86
	v_fmac_f32_e32 v21, v1, v87
	;; [unrolled: 1-line block ×6, first 2 shown]
	v_dual_fmac_f32 v17, v1, v91 :: v_dual_lshlrev_b32 v92, 16, v64
	v_lshlrev_b32_e32 v95, 16, v37
	v_and_b32_e32 v37, 0xffff0000, v37
	v_fmac_f32_e32 v7, v2, v176
	v_fmac_f32_e32 v13, v3, v134
	v_dual_fmac_f32 v15, v1, v124 :: v_dual_lshlrev_b32 v108, 16, v38
	v_and_b32_e32 v38, 0xffff0000, v38
	v_dual_fmac_f32 v18, v3, v100 :: v_dual_and_b32 v61, 0xffff0000, v61
	v_dual_fmac_f32 v7, v3, v177 :: v_dual_lshlrev_b32 v114, 16, v50
	v_dual_fmac_f32 v25, v3, v78 :: v_dual_lshlrev_b32 v128, 16, v72
	v_and_b32_e32 v44, 0xffff0000, v44
	v_fmac_f32_e32 v16, v1, v92
	v_dual_fmac_f32 v23, v3, v95 :: v_dual_and_b32 v60, 0xffff0000, v60
	v_fmac_f32_e32 v22, v2, v40
	v_dual_fmac_f32 v20, v2, v48 :: v_dual_and_b32 v57, 0xffff0000, v57
	;; [unrolled: 2-line block ×3, first 2 shown]
	s_delay_alu instid0(VALU_DEP_4) | instskip(NEXT) | instid1(VALU_DEP_3)
	v_dual_fmac_f32 v22, v3, v96 :: v_dual_and_b32 v53, 0xffff0000, v53
	v_dual_fmac_f32 v19, v3, v99 :: v_dual_lshlrev_b32 v110, 16, v42
	v_dual_fmac_f32 v25, v4, v79 :: v_dual_lshlrev_b32 v118, 16, v58
	;; [unrolled: 1-line block ×3, first 2 shown]
	v_dual_fmac_f32 v17, v2, v60 :: v_dual_fmac_f32 v20, v3, v98
	v_dual_fmac_f32 v18, v4, v57 :: v_dual_lshlrev_b32 v113, 16, v47
	v_fmac_f32_e32 v7, v4, v178
	v_dual_fmac_f32 v14, v1, v128 :: v_dual_lshlrev_b32 v97, 16, v45
	v_and_b32_e32 v64, 0xffff0000, v64
	v_dual_fmac_f32 v17, v3, v101 :: v_dual_and_b32 v42, 0xffff0000, v42
	s_delay_alu instid0(VALU_DEP_3) | instskip(NEXT) | instid1(VALU_DEP_3)
	v_dual_fmac_f32 v21, v3, v97 :: v_dual_and_b32 v58, 0xffff0000, v58
	v_dual_fmac_f32 v16, v2, v64 :: v_dual_and_b32 v41, 0xffff0000, v41
	v_lshlrev_b32_e32 v111, 16, v43
	v_dual_fmac_f32 v20, v4, v49 :: v_dual_and_b32 v43, 0xffff0000, v43
	v_lshlrev_b32_e32 v119, 16, v59
	v_fmac_f32_e32 v19, v4, v53
	s_waitcnt vmcnt(0)
	v_dual_fmac_f32 v18, v29, v118 :: v_dual_and_b32 v59, 0xffff0000, v59
	v_dual_fmac_f32 v25, v29, v80 :: v_dual_and_b32 v50, 0xffff0000, v50
	v_dual_fmac_f32 v17, v4, v61 :: v_dual_fmac_f32 v20, v29, v114
	v_lshlrev_b32_e32 v131, 16, v75
	s_delay_alu instid0(VALU_DEP_4) | instskip(NEXT) | instid1(VALU_DEP_4)
	v_dual_fmac_f32 v18, v30, v58 :: v_dual_and_b32 v75, 0xffff0000, v75
	v_dual_fmac_f32 v25, v30, v81 :: v_dual_and_b32 v72, 0xffff0000, v72
	v_dual_fmac_f32 v23, v4, v37 :: v_dual_lshlrev_b32 v116, 16, v54
	s_delay_alu instid0(VALU_DEP_3)
	v_fmac_f32_e32 v18, v31, v119
	v_dual_fmac_f32 v11, v4, v151 :: v_dual_lshlrev_b32 v122, 16, v66
	v_and_b32_e32 v66, 0xffff0000, v66
	v_fmac_f32_e32 v25, v31, v82
	v_dual_fmac_f32 v14, v2, v72 :: v_dual_and_b32 v45, 0xffff0000, v45
	v_and_b32_e32 v54, 0xffff0000, v54
	v_dual_fmac_f32 v24, v4, v103 :: v_dual_lshlrev_b32 v125, 16, v69
	v_dual_fmac_f32 v15, v2, v68 :: v_dual_lshlrev_b32 v112, 16, v46
	s_delay_alu instid0(VALU_DEP_4) | instskip(SKIP_1) | instid1(VALU_DEP_3)
	v_dual_fmac_f32 v21, v4, v45 :: v_dual_and_b32 v46, 0xffff0000, v46
	v_fmac_f32_e32 v9, v3, v164
	v_dual_fmac_f32 v15, v3, v125 :: v_dual_lshlrev_b32 v130, 16, v74
	s_delay_alu instid0(VALU_DEP_3) | instskip(NEXT) | instid1(VALU_DEP_3)
	v_dual_fmac_f32 v21, v29, v112 :: v_dual_lshlrev_b32 v126, 16, v70
	v_fmac_f32_e32 v9, v4, v165
	v_dual_fmac_f32 v22, v4, v41 :: v_dual_lshlrev_b32 v117, 16, v55
	s_delay_alu instid0(VALU_DEP_3) | instskip(NEXT) | instid1(VALU_DEP_2)
	v_dual_fmac_f32 v24, v29, v104 :: v_dual_fmac_f32 v21, v30, v46
	v_dual_fmac_f32 v22, v29, v110 :: v_dual_and_b32 v55, 0xffff0000, v55
	v_and_b32_e32 v73, 0xffff0000, v73
	v_dual_fmac_f32 v16, v3, v102 :: v_dual_and_b32 v65, 0xffff0000, v65
	s_delay_alu instid0(VALU_DEP_4) | instskip(SKIP_2) | instid1(VALU_DEP_4)
	v_fmac_f32_e32 v21, v31, v113
	v_fmac_f32_e32 v9, v29, v166
	v_dual_fmac_f32 v22, v30, v42 :: v_dual_and_b32 v47, 0xffff0000, v47
	v_dual_fmac_f32 v16, v4, v65 :: v_dual_lshlrev_b32 v121, 16, v63
	s_delay_alu instid0(VALU_DEP_3) | instskip(SKIP_4) | instid1(VALU_DEP_4)
	v_fmac_f32_e32 v9, v30, v167
	v_dual_fmac_f32 v10, v3, v158 :: v_dual_lshlrev_b32 v109, 16, v39
	v_dual_fmac_f32 v19, v29, v116 :: v_dual_and_b32 v74, 0xffff0000, v74
	v_lshlrev_b32_e32 v172, 16, v33
	v_and_b32_e32 v39, 0xffff0000, v39
	v_fmac_f32_e32 v10, v4, v159
	v_dual_fmac_f32 v14, v3, v129 :: v_dual_lshlrev_b32 v115, 16, v51
	s_delay_alu instid0(VALU_DEP_4) | instskip(SKIP_2) | instid1(VALU_DEP_4)
	v_fmac_f32_e32 v8, v3, v172
	v_fmac_f32_e32 v20, v30, v50
	v_fmac_f32_e32 v24, v30, v105
	v_dual_fmac_f32 v14, v4, v73 :: v_dual_and_b32 v63, 0xffff0000, v63
	v_fmac_f32_e32 v19, v30, v54
	v_dual_fmac_f32 v11, v29, v152 :: v_dual_fmac_f32 v12, v3, v142
	s_delay_alu instid0(VALU_DEP_3) | instskip(SKIP_2) | instid1(VALU_DEP_4)
	v_fmac_f32_e32 v14, v29, v130
	v_dual_fmac_f32 v24, v31, v106 :: v_dual_and_b32 v69, 0xffff0000, v69
	v_fmac_f32_e32 v25, v32, v83
	v_fmac_f32_e32 v12, v4, v143
	s_delay_alu instid0(VALU_DEP_4) | instskip(SKIP_1) | instid1(VALU_DEP_3)
	v_dual_fmac_f32 v14, v30, v74 :: v_dual_lshlrev_b32 v123, 16, v67
	v_dual_fmac_f32 v23, v29, v108 :: v_dual_and_b32 v70, 0xffff0000, v70
	v_fmac_f32_e32 v12, v29, v144
	s_delay_alu instid0(VALU_DEP_3) | instskip(SKIP_2) | instid1(VALU_DEP_3)
	v_dual_fmac_f32 v14, v31, v131 :: v_dual_and_b32 v33, 0xffff0000, v33
	v_fmac_f32_e32 v22, v31, v111
	v_dual_fmac_f32 v15, v4, v69 :: v_dual_lshlrev_b32 v120, 16, v62
	v_fmac_f32_e32 v14, v32, v75
	s_delay_alu instid0(VALU_DEP_4)
	v_dual_fmac_f32 v8, v4, v33 :: v_dual_and_b32 v51, 0xffff0000, v51
	v_lshlrev_b32_e32 v127, 16, v71
	v_dual_fmac_f32 v12, v30, v145 :: v_dual_and_b32 v71, 0xffff0000, v71
	v_dual_fmac_f32 v13, v4, v135 :: v_dual_and_b32 v62, 0xffff0000, v62
	;; [unrolled: 1-line block ×3, first 2 shown]
	v_fmac_f32_e32 v23, v30, v38
	s_delay_alu instid0(VALU_DEP_4)
	v_dual_fmac_f32 v12, v31, v146 :: v_dual_fmac_f32 v17, v29, v120
	v_fmac_f32_e32 v16, v29, v122
	v_fmac_f32_e32 v15, v29, v126
	;; [unrolled: 1-line block ×4, first 2 shown]
	v_dual_fmac_f32 v19, v31, v117 :: v_dual_and_b32 v34, 0xffff0000, v34
	v_dual_fmac_f32 v9, v31, v168 :: v_dual_fmac_f32 v24, v32, v107
	v_fmac_f32_e32 v10, v30, v161
	v_fmac_f32_e32 v12, v32, v147
	v_dual_fmac_f32 v8, v29, v173 :: v_dual_fmac_f32 v17, v30, v62
	v_fmac_f32_e32 v16, v30, v66
	v_fmac_f32_e32 v15, v30, v70
	;; [unrolled: 1-line block ×3, first 2 shown]
	s_delay_alu instid0(VALU_DEP_4)
	v_fmac_f32_e32 v8, v30, v34
	v_fmac_f32_e32 v18, v32, v59
	;; [unrolled: 1-line block ×3, first 2 shown]
	v_dual_fmac_f32 v7, v30, v180 :: v_dual_fmac_f32 v10, v31, v162
	v_dual_fmac_f32 v11, v30, v153 :: v_dual_lshlrev_b32 v174, 16, v35
	v_and_b32_e32 v35, 0xffff0000, v35
	v_fmac_f32_e32 v23, v31, v109
	v_fmac_f32_e32 v20, v31, v115
	s_delay_alu instid0(VALU_DEP_4)
	v_fmac_f32_e32 v11, v31, v154
	v_fmac_f32_e32 v17, v31, v121
	;; [unrolled: 1-line block ×20, first 2 shown]
	s_cbranch_scc0 .LBB50_1
; %bb.2:
	v_mbcnt_lo_u32_b32 v5, -1, 0
	v_lshrrev_b32_e32 v27, 5, v0
	s_delay_alu instid0(VALU_DEP_2) | instskip(SKIP_1) | instid1(VALU_DEP_2)
	v_xor_b32_e32 v1, 16, v5
	v_xor_b32_e32 v2, 8, v5
	v_cmp_gt_i32_e32 vcc_lo, 32, v1
	v_cndmask_b32_e32 v1, v5, v1, vcc_lo
	s_delay_alu instid0(VALU_DEP_3) | instskip(SKIP_1) | instid1(VALU_DEP_1)
	v_cmp_gt_i32_e32 vcc_lo, 32, v2
	v_cndmask_b32_e32 v2, v5, v2, vcc_lo
	v_lshlrev_b32_e32 v2, 2, v2
	s_delay_alu instid0(VALU_DEP_4)
	v_lshlrev_b32_e32 v1, 2, v1
	ds_bpermute_b32 v3, v1, v25
	s_waitcnt lgkmcnt(0)
	v_add_f32_e32 v4, v25, v3
	v_xor_b32_e32 v3, 4, v5
	ds_bpermute_b32 v6, v2, v4
	v_cmp_gt_i32_e32 vcc_lo, 32, v3
	s_waitcnt lgkmcnt(0)
	v_dual_cndmask_b32 v3, v5, v3 :: v_dual_add_f32 v6, v4, v6
	s_delay_alu instid0(VALU_DEP_1)
	v_lshlrev_b32_e32 v3, 2, v3
	v_xor_b32_e32 v4, 2, v5
	ds_bpermute_b32 v25, v3, v6
	v_cmp_gt_i32_e32 vcc_lo, 32, v4
	s_waitcnt lgkmcnt(0)
	v_dual_cndmask_b32 v4, v5, v4 :: v_dual_add_f32 v25, v6, v25
	v_xor_b32_e32 v6, 1, v5
	s_delay_alu instid0(VALU_DEP_1) | instskip(NEXT) | instid1(VALU_DEP_3)
	v_cmp_gt_i32_e32 vcc_lo, 32, v6
	v_dual_cndmask_b32 v5, v5, v6 :: v_dual_lshlrev_b32 v4, 2, v4
	ds_bpermute_b32 v26, v4, v25
	v_lshlrev_b32_e32 v6, 2, v5
	v_and_b32_e32 v5, 31, v0
	s_delay_alu instid0(VALU_DEP_1)
	v_cmp_eq_u32_e32 vcc_lo, 0, v5
	v_lshlrev_b32_e32 v5, 2, v27
	s_waitcnt lgkmcnt(0)
	v_add_f32_e32 v25, v25, v26
	ds_bpermute_b32 v26, v6, v25
	s_and_saveexec_b32 s0, vcc_lo
	s_cbranch_execz .LBB50_4
; %bb.3:
	s_waitcnt lgkmcnt(0)
	v_add_f32_e32 v25, v25, v26
	ds_store_b32 v5, v25
.LBB50_4:
	s_or_b32 exec_lo, exec_lo, s0
	ds_bpermute_b32 v25, v1, v24
	s_waitcnt lgkmcnt(0)
	v_add_f32_e32 v24, v24, v25
	ds_bpermute_b32 v25, v2, v24
	s_waitcnt lgkmcnt(0)
	v_add_f32_e32 v24, v24, v25
	ds_bpermute_b32 v25, v3, v24
	s_waitcnt lgkmcnt(0)
	v_add_f32_e32 v24, v24, v25
	ds_bpermute_b32 v25, v4, v24
	s_waitcnt lgkmcnt(0)
	v_add_f32_e32 v24, v24, v25
	ds_bpermute_b32 v25, v6, v24
	s_and_saveexec_b32 s0, vcc_lo
	s_cbranch_execz .LBB50_6
; %bb.5:
	s_waitcnt lgkmcnt(0)
	v_add_f32_e32 v24, v24, v25
	ds_store_b32 v5, v24 offset:16
.LBB50_6:
	s_or_b32 exec_lo, exec_lo, s0
	ds_bpermute_b32 v24, v1, v23
	s_waitcnt lgkmcnt(0)
	v_add_f32_e32 v23, v23, v24
	ds_bpermute_b32 v24, v2, v23
	s_waitcnt lgkmcnt(0)
	v_add_f32_e32 v23, v23, v24
	ds_bpermute_b32 v24, v3, v23
	s_waitcnt lgkmcnt(0)
	v_add_f32_e32 v23, v23, v24
	ds_bpermute_b32 v24, v4, v23
	s_waitcnt lgkmcnt(0)
	v_add_f32_e32 v23, v23, v24
	ds_bpermute_b32 v24, v6, v23
	s_and_saveexec_b32 s0, vcc_lo
	s_cbranch_execz .LBB50_8
; %bb.7:
	s_waitcnt lgkmcnt(0)
	v_add_f32_e32 v23, v23, v24
	ds_store_b32 v5, v23 offset:32
.LBB50_8:
	;; [unrolled: 21-line block ×18, first 2 shown]
	s_or_b32 exec_lo, exec_lo, s0
	s_waitcnt lgkmcnt(0)
	s_barrier
	buffer_gl0_inv
	s_mov_b32 s0, exec_lo
	v_cmpx_eq_u32_e32 0, v0
	s_cbranch_execz .LBB50_42
; %bb.41:
	v_mov_b32_e32 v40, 0
	s_ashr_i32 s3, s2, 31
	ds_load_b128 v[0:3], v40
	ds_load_b128 v[4:7], v40 offset:16
	ds_load_b128 v[8:11], v40 offset:32
	ds_load_b128 v[12:15], v40 offset:48
	ds_load_b128 v[16:19], v40 offset:64
	ds_load_b128 v[20:23], v40 offset:80
	ds_load_b128 v[24:27], v40 offset:96
	ds_load_b128 v[28:31], v40 offset:112
	s_lshl_b64 s[0:1], s[2:3], 2
	v_mov_b32_e32 v41, 0x2000
	s_add_u32 s0, s4, s0
	s_addc_u32 s1, s5, s1
	s_waitcnt lgkmcnt(4)
	v_add_f32_e32 v12, 0, v12
	v_add_f32_e32 v0, 0, v0
	s_waitcnt lgkmcnt(3)
	v_add_f32_e32 v16, 0, v16
	s_waitcnt lgkmcnt(1)
	v_add_f32_e32 v24, 0, v24
	s_waitcnt lgkmcnt(0)
	v_add_f32_e32 v28, 0, v28
	v_add_f32_e32 v20, 0, v20
	;; [unrolled: 1-line block ×4, first 2 shown]
	s_delay_alu instid0(VALU_DEP_2)
	v_add_f32_e32 v1, v4, v5
	ds_load_b128 v[32:35], v40 offset:128
	ds_load_b128 v[36:39], v40 offset:144
	v_dual_add_f32 v5, v12, v13 :: v_dual_add_f32 v8, 0, v8
	v_add_f32_e32 v12, v24, v25
	v_add_f32_e32 v6, v1, v6
	s_delay_alu instid0(VALU_DEP_3) | instskip(NEXT) | instid1(VALU_DEP_2)
	v_dual_add_f32 v5, v5, v14 :: v_dual_add_f32 v4, v8, v9
	v_dual_add_f32 v8, v16, v17 :: v_dual_add_f32 v17, v6, v7
	v_add_f32_e32 v9, v20, v21
	s_delay_alu instid0(VALU_DEP_3) | instskip(SKIP_2) | instid1(VALU_DEP_1)
	v_dual_add_f32 v7, v12, v26 :: v_dual_add_f32 v20, v5, v15
	v_mov_b32_e32 v21, 0x1000
	v_add_f32_e32 v5, v28, v29
	v_add_f32_e32 v12, v5, v30
	s_waitcnt lgkmcnt(1)
	v_add_f32_e32 v6, 0, v32
	v_add_f32_e32 v8, v8, v18
	s_waitcnt lgkmcnt(0)
	v_add_f32_e32 v26, 0, v36
	s_delay_alu instid0(VALU_DEP_3) | instskip(NEXT) | instid1(VALU_DEP_3)
	v_dual_add_f32 v24, v12, v31 :: v_dual_add_f32 v13, v6, v33
	v_add_f32_e32 v19, v8, v19
	s_delay_alu instid0(VALU_DEP_3) | instskip(NEXT) | instid1(VALU_DEP_3)
	v_add_f32_e32 v37, v26, v37
	v_add_f32_e32 v25, v13, v34
	;; [unrolled: 1-line block ×3, first 2 shown]
	s_delay_alu instid0(VALU_DEP_2) | instskip(NEXT) | instid1(VALU_DEP_2)
	v_add_f32_e32 v36, v25, v35
	v_add_f32_e32 v18, v4, v11
	;; [unrolled: 1-line block ×3, first 2 shown]
	s_delay_alu instid0(VALU_DEP_1) | instskip(SKIP_1) | instid1(VALU_DEP_1)
	v_add_f32_e32 v22, v4, v23
	v_dual_add_f32 v23, v7, v27 :: v_dual_add_f32 v0, v0, v2
	v_add_f32_e32 v16, v0, v3
	ds_load_b128 v[0:3], v40 offset:160
	ds_load_b128 v[4:7], v40 offset:176
	;; [unrolled: 1-line block ×4, first 2 shown]
	s_waitcnt lgkmcnt(3)
	v_add_f32_e32 v0, 0, v0
	s_waitcnt lgkmcnt(2)
	s_delay_alu instid0(VALU_DEP_1) | instskip(NEXT) | instid1(VALU_DEP_1)
	v_dual_add_f32 v0, v0, v1 :: v_dual_add_f32 v1, 0, v4
	v_add_f32_e32 v1, v1, v5
	v_add_f32_e32 v5, v37, v38
	s_delay_alu instid0(VALU_DEP_2)
	v_add_f32_e32 v1, v1, v6
	s_clause 0x7
	global_store_b32 v40, v16, s[0:1]
	global_store_b32 v40, v17, s[0:1] offset:1024
	global_store_b32 v40, v18, s[0:1] offset:2048
	;; [unrolled: 1-line block ×3, first 2 shown]
	global_store_b32 v21, v19, s[0:1]
	global_store_b32 v21, v22, s[0:1] offset:1024
	global_store_b32 v21, v23, s[0:1] offset:2048
	;; [unrolled: 1-line block ×3, first 2 shown]
	ds_load_b128 v[16:19], v40 offset:224
	ds_load_b128 v[20:23], v40 offset:240
	;; [unrolled: 1-line block ×5, first 2 shown]
	s_waitcnt lgkmcnt(6)
	v_add_f32_e32 v4, 0, v8
	s_waitcnt lgkmcnt(5)
	v_dual_add_f32 v8, 0, v12 :: v_dual_add_f32 v1, v1, v7
	v_dual_add_f32 v5, v5, v39 :: v_dual_mov_b32 v6, 0x3000
	s_delay_alu instid0(VALU_DEP_3) | instskip(SKIP_1) | instid1(VALU_DEP_1)
	v_add_f32_e32 v4, v4, v9
	s_waitcnt lgkmcnt(3)
	v_dual_add_f32 v4, v4, v10 :: v_dual_add_f32 v7, 0, v20
	s_waitcnt lgkmcnt(1)
	v_add_f32_e32 v9, 0, v28
	s_waitcnt lgkmcnt(0)
	s_delay_alu instid0(VALU_DEP_2) | instskip(NEXT) | instid1(VALU_DEP_2)
	v_dual_add_f32 v10, 0, v32 :: v_dual_add_f32 v7, v7, v21
	v_add_f32_e32 v9, v9, v29
	s_delay_alu instid0(VALU_DEP_2) | instskip(NEXT) | instid1(VALU_DEP_2)
	v_dual_add_f32 v10, v10, v33 :: v_dual_add_f32 v7, v7, v22
	v_add_f32_e32 v9, v9, v30
	v_add_f32_e32 v0, v0, v2
	;; [unrolled: 1-line block ×4, first 2 shown]
	s_delay_alu instid0(VALU_DEP_4) | instskip(NEXT) | instid1(VALU_DEP_4)
	v_dual_add_f32 v10, v10, v34 :: v_dual_add_f32 v9, v9, v31
	v_add_f32_e32 v0, v0, v3
	v_dual_add_f32 v3, v4, v11 :: v_dual_add_f32 v4, 0, v16
	s_delay_alu instid0(VALU_DEP_4) | instskip(SKIP_1) | instid1(VALU_DEP_3)
	v_add_f32_e32 v8, v8, v25
	v_dual_add_f32 v2, v2, v14 :: v_dual_add_f32 v7, v7, v23
	v_dual_mov_b32 v11, 0x4000 :: v_dual_add_f32 v4, v4, v17
	s_delay_alu instid0(VALU_DEP_3) | instskip(NEXT) | instid1(VALU_DEP_3)
	v_add_f32_e32 v8, v8, v26
	v_add_f32_e32 v2, v2, v15
	;; [unrolled: 1-line block ×3, first 2 shown]
	s_delay_alu instid0(VALU_DEP_4) | instskip(NEXT) | instid1(VALU_DEP_4)
	v_add_f32_e32 v4, v4, v18
	v_add_f32_e32 v8, v8, v27
	s_delay_alu instid0(VALU_DEP_2)
	v_add_f32_e32 v4, v4, v19
	s_clause 0xa
	global_store_b32 v41, v36, s[0:1]
	global_store_b32 v41, v5, s[0:1] offset:1024
	global_store_b32 v41, v0, s[0:1] offset:2048
	;; [unrolled: 1-line block ×3, first 2 shown]
	global_store_b32 v6, v3, s[0:1]
	global_store_b32 v6, v2, s[0:1] offset:1024
	global_store_b32 v6, v4, s[0:1] offset:2048
	;; [unrolled: 1-line block ×3, first 2 shown]
	global_store_b32 v11, v8, s[0:1]
	global_store_b32 v11, v9, s[0:1] offset:1024
	global_store_b32 v11, v10, s[0:1] offset:2048
.LBB50_42:
	s_nop 0
	s_sendmsg sendmsg(MSG_DEALLOC_VGPRS)
	s_endpgm
	.section	.rodata,"a",@progbits
	.p2align	6, 0x0
	.amdhsa_kernel _Z23fp32_router_gemm_kernelI14__hip_bfloat16Li128ELi19ELi256ELi3072EEvPfPKT_PKf
		.amdhsa_group_segment_fixed_size 304
		.amdhsa_private_segment_fixed_size 0
		.amdhsa_kernarg_size 24
		.amdhsa_user_sgpr_count 15
		.amdhsa_user_sgpr_dispatch_ptr 0
		.amdhsa_user_sgpr_queue_ptr 0
		.amdhsa_user_sgpr_kernarg_segment_ptr 1
		.amdhsa_user_sgpr_dispatch_id 0
		.amdhsa_user_sgpr_private_segment_size 0
		.amdhsa_wavefront_size32 1
		.amdhsa_uses_dynamic_stack 0
		.amdhsa_enable_private_segment 0
		.amdhsa_system_sgpr_workgroup_id_x 1
		.amdhsa_system_sgpr_workgroup_id_y 0
		.amdhsa_system_sgpr_workgroup_id_z 0
		.amdhsa_system_sgpr_workgroup_info 0
		.amdhsa_system_vgpr_workitem_id 0
		.amdhsa_next_free_vgpr 183
		.amdhsa_next_free_sgpr 16
		.amdhsa_reserve_vcc 1
		.amdhsa_float_round_mode_32 0
		.amdhsa_float_round_mode_16_64 0
		.amdhsa_float_denorm_mode_32 3
		.amdhsa_float_denorm_mode_16_64 3
		.amdhsa_dx10_clamp 1
		.amdhsa_ieee_mode 1
		.amdhsa_fp16_overflow 0
		.amdhsa_workgroup_processor_mode 1
		.amdhsa_memory_ordered 1
		.amdhsa_forward_progress 0
		.amdhsa_shared_vgpr_count 0
		.amdhsa_exception_fp_ieee_invalid_op 0
		.amdhsa_exception_fp_denorm_src 0
		.amdhsa_exception_fp_ieee_div_zero 0
		.amdhsa_exception_fp_ieee_overflow 0
		.amdhsa_exception_fp_ieee_underflow 0
		.amdhsa_exception_fp_ieee_inexact 0
		.amdhsa_exception_int_div_zero 0
	.end_amdhsa_kernel
	.section	.text._Z23fp32_router_gemm_kernelI14__hip_bfloat16Li128ELi19ELi256ELi3072EEvPfPKT_PKf,"axG",@progbits,_Z23fp32_router_gemm_kernelI14__hip_bfloat16Li128ELi19ELi256ELi3072EEvPfPKT_PKf,comdat
.Lfunc_end50:
	.size	_Z23fp32_router_gemm_kernelI14__hip_bfloat16Li128ELi19ELi256ELi3072EEvPfPKT_PKf, .Lfunc_end50-_Z23fp32_router_gemm_kernelI14__hip_bfloat16Li128ELi19ELi256ELi3072EEvPfPKT_PKf
                                        ; -- End function
	.section	.AMDGPU.csdata,"",@progbits
; Kernel info:
; codeLenInByte = 5220
; NumSgprs: 18
; NumVgprs: 183
; ScratchSize: 0
; MemoryBound: 0
; FloatMode: 240
; IeeeMode: 1
; LDSByteSize: 304 bytes/workgroup (compile time only)
; SGPRBlocks: 2
; VGPRBlocks: 22
; NumSGPRsForWavesPerEU: 18
; NumVGPRsForWavesPerEU: 183
; Occupancy: 8
; WaveLimiterHint : 1
; COMPUTE_PGM_RSRC2:SCRATCH_EN: 0
; COMPUTE_PGM_RSRC2:USER_SGPR: 15
; COMPUTE_PGM_RSRC2:TRAP_HANDLER: 0
; COMPUTE_PGM_RSRC2:TGID_X_EN: 1
; COMPUTE_PGM_RSRC2:TGID_Y_EN: 0
; COMPUTE_PGM_RSRC2:TGID_Z_EN: 0
; COMPUTE_PGM_RSRC2:TIDIG_COMP_CNT: 0
	.section	.text._Z23fp32_router_gemm_kernelI14__hip_bfloat16Li128ELi20ELi256ELi3072EEvPfPKT_PKf,"axG",@progbits,_Z23fp32_router_gemm_kernelI14__hip_bfloat16Li128ELi20ELi256ELi3072EEvPfPKT_PKf,comdat
	.protected	_Z23fp32_router_gemm_kernelI14__hip_bfloat16Li128ELi20ELi256ELi3072EEvPfPKT_PKf ; -- Begin function _Z23fp32_router_gemm_kernelI14__hip_bfloat16Li128ELi20ELi256ELi3072EEvPfPKT_PKf
	.globl	_Z23fp32_router_gemm_kernelI14__hip_bfloat16Li128ELi20ELi256ELi3072EEvPfPKT_PKf
	.p2align	8
	.type	_Z23fp32_router_gemm_kernelI14__hip_bfloat16Li128ELi20ELi256ELi3072EEvPfPKT_PKf,@function
_Z23fp32_router_gemm_kernelI14__hip_bfloat16Li128ELi20ELi256ELi3072EEvPfPKT_PKf: ; @_Z23fp32_router_gemm_kernelI14__hip_bfloat16Li128ELi20ELi256ELi3072EEvPfPKT_PKf
; %bb.0:
	s_clause 0x1
	s_load_b128 s[4:7], s[0:1], 0x0
	s_load_b64 s[0:1], s[0:1], 0x10
	v_dual_mov_b32 v26, 0 :: v_dual_lshlrev_b32 v27, 3, v0
	s_mul_i32 s8, s15, 0xc00
	v_dual_mov_b32 v25, 0 :: v_dual_mov_b32 v24, 0
	s_ashr_i32 s9, s8, 31
	s_delay_alu instid0(VALU_DEP_2)
	v_or_b32_e32 v28, 0x400, v27
	s_lshl_b64 s[8:9], s[8:9], 2
	v_or_b32_e32 v29, 0x800, v27
	v_dual_mov_b32 v23, 0 :: v_dual_mov_b32 v22, 0
	v_dual_mov_b32 v21, 0 :: v_dual_mov_b32 v20, 0
	;; [unrolled: 1-line block ×8, first 2 shown]
	v_mov_b32_e32 v7, 0
	s_waitcnt lgkmcnt(0)
	s_add_u32 s0, s0, s8
	s_mov_b32 s2, s15
	s_addc_u32 s1, s1, s9
	s_mov_b64 s[8:9], 0
.LBB51_1:                               ; =>This Inner Loop Header: Depth=1
	s_delay_alu instid0(SALU_CYCLE_1)
	s_cmp_eq_u32 s8, 1
	s_cselect_b32 vcc_lo, -1, 0
	s_cmp_eq_u32 s8, 2
	v_cndmask_b32_e32 v1, v27, v28, vcc_lo
	s_cselect_b32 vcc_lo, -1, 0
	s_add_u32 s8, s8, 1
	s_addc_u32 s9, s9, 0
	s_cmp_eq_u32 s8, 3
	v_cndmask_b32_e32 v30, v1, v29, vcc_lo
	s_delay_alu instid0(VALU_DEP_1) | instskip(NEXT) | instid1(VALU_DEP_1)
	v_lshlrev_b32_e32 v1, 1, v30
	v_add_co_u32 v31, s3, s6, v1
	s_delay_alu instid0(VALU_DEP_1)
	v_add_co_ci_u32_e64 v32, null, s7, 0, s3
	global_load_b128 v[1:4], v1, s[6:7]
	v_add_co_u32 v5, vcc_lo, 0x1000, v31
	v_add_co_ci_u32_e32 v6, vcc_lo, 0, v32, vcc_lo
	v_add_co_u32 v37, vcc_lo, 0x3000, v31
	v_add_co_ci_u32_e32 v38, vcc_lo, 0, v32, vcc_lo
	;; [unrolled: 2-line block ×10, first 2 shown]
	s_clause 0x9
	global_load_b128 v[33:36], v[5:6], off offset:2048
	global_load_b128 v[37:40], v[37:38], off
	global_load_b128 v[41:44], v[41:42], off offset:2048
	global_load_b128 v[45:48], v[45:46], off
	;; [unrolled: 2-line block ×5, first 2 shown]
	v_add_co_u32 v73, vcc_lo, 0x10000, v31
	v_add_co_ci_u32_e32 v74, vcc_lo, 0, v32, vcc_lo
	s_waitcnt vmcnt(10)
	v_lshlrev_b32_e32 v77, 16, v2
	v_and_b32_e32 v78, 0xffff0000, v2
	v_lshlrev_b32_e32 v79, 16, v3
	s_waitcnt vmcnt(9)
	v_and_b32_e32 v92, 0xffff0000, v33
	v_and_b32_e32 v102, 0xffff0000, v34
	v_lshlrev_b32_e32 v103, 16, v35
	s_waitcnt vmcnt(6)
	v_lshlrev_b32_e32 v86, 16, v45
	v_lshlrev_b32_e32 v83, 16, v33
	v_and_b32_e32 v76, 0xffff0000, v1
	s_waitcnt vmcnt(4)
	v_lshlrev_b32_e32 v88, 16, v53
	v_lshlrev_b32_e32 v85, 16, v41
	v_and_b32_e32 v80, 0xffff0000, v3
	;; [unrolled: 4-line block ×3, first 2 shown]
	s_waitcnt vmcnt(1)
	v_lshlrev_b32_e32 v91, 16, v65
	v_lshlrev_b32_e32 v84, 16, v37
	v_lshlrev_b32_e32 v75, 16, v1
	v_lshlrev_b32_e32 v81, 16, v4
	global_load_b128 v[1:4], v[73:74], off offset:2048
	v_and_b32_e32 v104, 0xffff0000, v35
	v_lshlrev_b32_e32 v105, 16, v36
	v_and_b32_e32 v106, 0xffff0000, v36
	s_waitcnt vmcnt(1)
	v_lshlrev_b32_e32 v73, 16, v69
	v_lshlrev_b32_e32 v93, 16, v34
	s_waitcnt vmcnt(0)
	v_lshlrev_b32_e32 v125, 16, v1
	v_and_b32_e32 v126, 0xffff0000, v1
	v_add_co_u32 v1, vcc_lo, 0x12000, v31
	v_lshlrev_b32_e32 v127, 16, v2
	v_and_b32_e32 v128, 0xffff0000, v2
	v_add_co_ci_u32_e32 v2, vcc_lo, 0, v32, vcc_lo
	v_add_co_u32 v5, vcc_lo, 0x13000, v31
	v_add_co_ci_u32_e32 v6, vcc_lo, 0, v32, vcc_lo
	v_lshlrev_b32_e32 v129, 16, v3
	v_and_b32_e32 v130, 0xffff0000, v3
	v_lshlrev_b32_e32 v131, 16, v4
	v_and_b32_e32 v132, 0xffff0000, v4
	s_clause 0x1
	global_load_b128 v[1:4], v[1:2], off
	global_load_b128 v[33:36], v[5:6], off offset:2048
	s_waitcnt vmcnt(1)
	v_lshlrev_b32_e32 v133, 16, v1
	v_and_b32_e32 v134, 0xffff0000, v1
	v_add_co_u32 v1, vcc_lo, 0x15000, v31
	v_lshlrev_b32_e32 v135, 16, v2
	v_and_b32_e32 v136, 0xffff0000, v2
	v_add_co_ci_u32_e32 v2, vcc_lo, 0, v32, vcc_lo
	v_add_co_u32 v5, vcc_lo, 0x16000, v31
	v_add_co_ci_u32_e32 v6, vcc_lo, 0, v32, vcc_lo
	v_and_b32_e32 v138, 0xffff0000, v3
	v_lshlrev_b32_e32 v137, 16, v3
	v_lshlrev_b32_e32 v139, 16, v4
	v_and_b32_e32 v140, 0xffff0000, v4
	s_waitcnt vmcnt(0)
	v_lshlrev_b32_e32 v141, 16, v33
	v_and_b32_e32 v142, 0xffff0000, v33
	v_lshlrev_b32_e32 v143, 16, v34
	v_and_b32_e32 v144, 0xffff0000, v34
	;; [unrolled: 2-line block ×4, first 2 shown]
	s_clause 0x1
	global_load_b128 v[1:4], v[1:2], off
	global_load_b128 v[33:36], v[5:6], off offset:2048
	s_waitcnt vmcnt(1)
	v_lshlrev_b32_e32 v149, 16, v1
	v_and_b32_e32 v150, 0xffff0000, v1
	v_add_co_u32 v1, vcc_lo, 0x18000, v31
	v_lshlrev_b32_e32 v151, 16, v2
	v_and_b32_e32 v152, 0xffff0000, v2
	v_add_co_ci_u32_e32 v2, vcc_lo, 0, v32, vcc_lo
	v_add_co_u32 v5, vcc_lo, 0x19000, v31
	v_add_co_ci_u32_e32 v6, vcc_lo, 0, v32, vcc_lo
	v_lshlrev_b32_e32 v153, 16, v3
	v_and_b32_e32 v154, 0xffff0000, v3
	v_lshlrev_b32_e32 v155, 16, v4
	s_waitcnt vmcnt(0)
	v_lshlrev_b32_e32 v157, 16, v33
	v_and_b32_e32 v158, 0xffff0000, v33
	v_lshlrev_b32_e32 v159, 16, v34
	v_and_b32_e32 v160, 0xffff0000, v34
	;; [unrolled: 2-line block ×3, first 2 shown]
	v_and_b32_e32 v156, 0xffff0000, v4
	v_lshlrev_b32_e32 v163, 16, v36
	v_and_b32_e32 v164, 0xffff0000, v36
	s_clause 0x1
	global_load_b128 v[1:4], v[1:2], off
	global_load_b128 v[33:36], v[5:6], off offset:2048
	v_lshlrev_b32_e32 v30, 2, v30
	s_waitcnt vmcnt(1)
	v_lshlrev_b32_e32 v165, 16, v1
	v_and_b32_e32 v166, 0xffff0000, v1
	v_add_co_u32 v1, vcc_lo, 0x1b000, v31
	v_lshlrev_b32_e32 v167, 16, v2
	v_and_b32_e32 v168, 0xffff0000, v2
	v_add_co_ci_u32_e32 v2, vcc_lo, 0, v32, vcc_lo
	v_add_co_u32 v5, vcc_lo, 0x1c000, v31
	v_add_co_ci_u32_e32 v6, vcc_lo, 0, v32, vcc_lo
	v_lshlrev_b32_e32 v169, 16, v3
	v_and_b32_e32 v170, 0xffff0000, v3
	v_lshlrev_b32_e32 v171, 16, v4
	v_and_b32_e32 v172, 0xffff0000, v4
	s_waitcnt vmcnt(0)
	v_lshlrev_b32_e32 v173, 16, v33
	v_and_b32_e32 v174, 0xffff0000, v33
	v_lshlrev_b32_e32 v175, 16, v34
	v_and_b32_e32 v176, 0xffff0000, v34
	s_clause 0x1
	global_load_b128 v[1:4], v[1:2], off
	global_load_b128 v[31:34], v[5:6], off offset:2048
	s_waitcnt vmcnt(1)
	v_and_b32_e32 v6, 0xffff0000, v1
	v_lshlrev_b32_e32 v179, 16, v2
	v_and_b32_e32 v180, 0xffff0000, v2
	v_lshlrev_b32_e32 v181, 16, v3
	;; [unrolled: 2-line block ×3, first 2 shown]
	v_lshlrev_b32_e32 v5, 16, v1
	s_waitcnt vmcnt(0)
	v_lshlrev_b32_e32 v185, 16, v31
	v_and_b32_e32 v186, 0xffff0000, v31
	v_lshlrev_b32_e32 v187, 16, v32
	v_and_b32_e32 v188, 0xffff0000, v32
	;; [unrolled: 2-line block ×4, first 2 shown]
	v_and_b32_e32 v184, 0xffff0000, v4
	s_clause 0x1
	global_load_b128 v[1:4], v30, s[0:1]
	global_load_b128 v[30:33], v30, s[0:1] offset:16
	v_lshlrev_b32_e32 v95, 16, v42
	v_lshlrev_b32_e32 v99, 16, v58
	;; [unrolled: 1-line block ×5, first 2 shown]
	s_waitcnt vmcnt(1)
	v_dual_fmac_f32 v11, v1, v157 :: v_dual_lshlrev_b32 v100, 16, v62
	v_fmac_f32_e32 v14, v1, v133
	v_fmac_f32_e32 v22, v1, v86
	;; [unrolled: 1-line block ×5, first 2 shown]
	v_dual_fmac_f32 v14, v2, v134 :: v_dual_fmac_f32 v17, v1, v91
	v_fmac_f32_e32 v24, v1, v84
	s_delay_alu instid0(VALU_DEP_4) | instskip(NEXT) | instid1(VALU_DEP_4)
	v_dual_fmac_f32 v26, v1, v75 :: v_dual_fmac_f32 v7, v2, v186
	v_dual_fmac_f32 v10, v2, v166 :: v_dual_and_b32 v41, 0xffff0000, v41
	v_lshlrev_b32_e32 v114, 16, v52
	s_delay_alu instid0(VALU_DEP_3) | instskip(SKIP_3) | instid1(VALU_DEP_4)
	v_dual_fmac_f32 v26, v2, v76 :: v_dual_fmac_f32 v7, v3, v187
	v_fmac_f32_e32 v12, v1, v149
	v_and_b32_e32 v37, 0xffff0000, v37
	v_fmac_f32_e32 v8, v1, v5
	v_fmac_f32_e32 v26, v3, v77
	v_lshlrev_b32_e32 v89, 16, v57
	v_and_b32_e32 v45, 0xffff0000, v45
	s_delay_alu instid0(VALU_DEP_4) | instskip(NEXT) | instid1(VALU_DEP_4)
	v_dual_fmac_f32 v13, v1, v141 :: v_dual_fmac_f32 v8, v2, v6
	v_fmac_f32_e32 v26, v4, v78
	s_delay_alu instid0(VALU_DEP_4)
	v_dual_fmac_f32 v19, v1, v89 :: v_dual_lshlrev_b32 v94, 16, v38
	v_and_b32_e32 v38, 0xffff0000, v38
	v_fmac_f32_e32 v22, v2, v45
	v_fmac_f32_e32 v12, v2, v150
	;; [unrolled: 1-line block ×4, first 2 shown]
	v_dual_fmac_f32 v15, v1, v125 :: v_dual_lshlrev_b32 v96, 16, v46
	v_fmac_f32_e32 v7, v4, v188
	s_delay_alu instid0(VALU_DEP_4) | instskip(NEXT) | instid1(VALU_DEP_3)
	v_dual_fmac_f32 v24, v3, v94 :: v_dual_and_b32 v49, 0xffff0000, v49
	v_dual_fmac_f32 v22, v3, v96 :: v_dual_and_b32 v53, 0xffff0000, v53
	v_fmac_f32_e32 v13, v2, v142
	v_fmac_f32_e32 v18, v1, v90
	v_dual_fmac_f32 v21, v1, v87 :: v_dual_and_b32 v46, 0xffff0000, v46
	s_waitcnt vmcnt(0)
	v_fmac_f32_e32 v7, v30, v189
	v_fmac_f32_e32 v9, v1, v173
	v_and_b32_e32 v61, 0xffff0000, v61
	v_fmac_f32_e32 v21, v2, v49
	v_dual_fmac_f32 v22, v4, v46 :: v_dual_lshlrev_b32 v111, 16, v47
	v_fmac_f32_e32 v7, v31, v190
	v_fmac_f32_e32 v11, v2, v158
	v_fmac_f32_e32 v25, v2, v92
	v_lshlrev_b32_e32 v112, 16, v48
	v_fmac_f32_e32 v22, v30, v111
	v_fmac_f32_e32 v14, v3, v135
	v_dual_fmac_f32 v11, v3, v159 :: v_dual_fmac_f32 v16, v1, v73
	v_dual_fmac_f32 v25, v3, v93 :: v_dual_and_b32 v58, 0xffff0000, v58
	v_dual_fmac_f32 v9, v2, v174 :: v_dual_and_b32 v52, 0xffff0000, v52
	;; [unrolled: 1-line block ×3, first 2 shown]
	s_delay_alu instid0(VALU_DEP_3) | instskip(NEXT) | instid1(VALU_DEP_3)
	v_dual_fmac_f32 v25, v4, v102 :: v_dual_lshlrev_b32 v120, 16, v64
	v_dual_fmac_f32 v9, v3, v175 :: v_dual_and_b32 v48, 0xffff0000, v48
	v_dual_fmac_f32 v12, v3, v151 :: v_dual_and_b32 v69, 0xffff0000, v69
	s_delay_alu instid0(VALU_DEP_3) | instskip(SKIP_1) | instid1(VALU_DEP_3)
	v_fmac_f32_e32 v25, v30, v103
	v_dual_fmac_f32 v18, v2, v61 :: v_dual_lshlrev_b32 v109, 16, v43
	v_dual_fmac_f32 v16, v2, v69 :: v_dual_fmac_f32 v13, v3, v143
	s_delay_alu instid0(VALU_DEP_3) | instskip(NEXT) | instid1(VALU_DEP_3)
	v_fmac_f32_e32 v25, v31, v104
	v_fmac_f32_e32 v18, v3, v100
	;; [unrolled: 1-line block ×7, first 2 shown]
	v_dual_fmac_f32 v15, v2, v126 :: v_dual_fmac_f32 v20, v1, v88
	v_lshlrev_b32_e32 v107, 16, v39
	v_dual_fmac_f32 v23, v1, v85 :: v_dual_and_b32 v42, 0xffff0000, v42
	s_delay_alu instid0(VALU_DEP_3) | instskip(SKIP_1) | instid1(VALU_DEP_3)
	v_dual_fmac_f32 v20, v2, v53 :: v_dual_and_b32 v39, 0xffff0000, v39
	v_and_b32_e32 v57, 0xffff0000, v57
	v_dual_fmac_f32 v23, v2, v41 :: v_dual_and_b32 v62, 0xffff0000, v62
	v_dual_fmac_f32 v15, v3, v127 :: v_dual_lshlrev_b32 v110, 16, v44
	s_delay_alu instid0(VALU_DEP_4) | instskip(NEXT) | instid1(VALU_DEP_4)
	v_fmac_f32_e32 v20, v3, v98
	v_dual_fmac_f32 v19, v2, v57 :: v_dual_and_b32 v50, 0xffff0000, v50
	v_and_b32_e32 v44, 0xffff0000, v44
	s_delay_alu instid0(VALU_DEP_4)
	v_dual_fmac_f32 v15, v4, v128 :: v_dual_lshlrev_b32 v74, 16, v70
	v_fmac_f32_e32 v23, v3, v95
	v_dual_fmac_f32 v18, v4, v62 :: v_dual_lshlrev_b32 v113, 16, v51
	v_lshlrev_b32_e32 v116, 16, v56
	v_dual_fmac_f32 v21, v4, v50 :: v_dual_and_b32 v56, 0xffff0000, v56
	v_dual_fmac_f32 v16, v3, v74 :: v_dual_and_b32 v65, 0xffff0000, v65
	v_lshlrev_b32_e32 v122, 16, v68
	v_dual_fmac_f32 v13, v4, v144 :: v_dual_and_b32 v70, 0xffff0000, v70
	v_and_b32_e32 v51, 0xffff0000, v51
	v_dual_fmac_f32 v21, v30, v113 :: v_dual_lshlrev_b32 v108, 16, v40
	s_delay_alu instid0(VALU_DEP_3) | instskip(SKIP_1) | instid1(VALU_DEP_3)
	v_dual_fmac_f32 v19, v3, v99 :: v_dual_fmac_f32 v16, v4, v70
	v_dual_fmac_f32 v24, v4, v38 :: v_dual_and_b32 v43, 0xffff0000, v43
	v_fmac_f32_e32 v21, v31, v51
	v_fmac_f32_e32 v26, v30, v79
	v_lshlrev_b32_e32 v117, 16, v59
	v_dual_fmac_f32 v19, v4, v58 :: v_dual_lshlrev_b32 v118, 16, v60
	s_delay_alu instid0(VALU_DEP_3) | instskip(SKIP_2) | instid1(VALU_DEP_3)
	v_dual_fmac_f32 v21, v32, v114 :: v_dual_fmac_f32 v26, v31, v80
	v_fmac_f32_e32 v24, v30, v107
	v_dual_fmac_f32 v17, v2, v65 :: v_dual_and_b32 v54, 0xffff0000, v54
	v_fmac_f32_e32 v21, v33, v52
	v_dual_fmac_f32 v8, v4, v180 :: v_dual_lshlrev_b32 v119, 16, v63
	v_dual_fmac_f32 v26, v32, v81 :: v_dual_and_b32 v63, 0xffff0000, v63
	s_delay_alu instid0(VALU_DEP_4) | instskip(NEXT) | instid1(VALU_DEP_3)
	v_dual_fmac_f32 v20, v4, v54 :: v_dual_and_b32 v47, 0xffff0000, v47
	v_fmac_f32_e32 v18, v30, v119
	v_dual_fmac_f32 v10, v4, v168 :: v_dual_and_b32 v59, 0xffff0000, v59
	v_dual_fmac_f32 v19, v30, v117 :: v_dual_and_b32 v68, 0xffff0000, v68
	v_fmac_f32_e32 v24, v31, v39
	s_delay_alu instid0(VALU_DEP_4) | instskip(SKIP_4) | instid1(VALU_DEP_3)
	v_fmac_f32_e32 v18, v31, v63
	v_dual_fmac_f32 v17, v3, v101 :: v_dual_and_b32 v40, 0xffff0000, v40
	v_dual_fmac_f32 v23, v4, v42 :: v_dual_and_b32 v64, 0xffff0000, v64
	v_fmac_f32_e32 v22, v31, v47
	v_dual_fmac_f32 v19, v31, v59 :: v_dual_fmac_f32 v24, v32, v108
	v_fmac_f32_e32 v23, v30, v109
	v_dual_fmac_f32 v18, v32, v120 :: v_dual_lshlrev_b32 v177, 16, v35
	v_dual_fmac_f32 v17, v4, v66 :: v_dual_and_b32 v60, 0xffff0000, v60
	v_dual_fmac_f32 v10, v30, v169 :: v_dual_lshlrev_b32 v123, 16, v71
	v_dual_fmac_f32 v22, v32, v112 :: v_dual_and_b32 v35, 0xffff0000, v35
	v_dual_fmac_f32 v19, v32, v118 :: v_dual_fmac_f32 v24, v33, v40
	s_delay_alu instid0(VALU_DEP_2) | instskip(SKIP_1) | instid1(VALU_DEP_2)
	v_dual_fmac_f32 v9, v30, v177 :: v_dual_fmac_f32 v22, v33, v48
	v_dual_fmac_f32 v18, v33, v64 :: v_dual_and_b32 v71, 0xffff0000, v71
	v_dual_fmac_f32 v8, v30, v181 :: v_dual_fmac_f32 v9, v31, v35
	v_fmac_f32_e32 v12, v4, v152
	v_dual_fmac_f32 v19, v33, v60 :: v_dual_fmac_f32 v10, v31, v170
	s_delay_alu instid0(VALU_DEP_3) | instskip(SKIP_4) | instid1(VALU_DEP_4)
	v_dual_fmac_f32 v8, v31, v182 :: v_dual_fmac_f32 v11, v30, v161
	v_dual_fmac_f32 v14, v4, v136 :: v_dual_lshlrev_b32 v115, 16, v55
	v_and_b32_e32 v55, 0xffff0000, v55
	v_lshlrev_b32_e32 v121, 16, v67
	v_dual_fmac_f32 v12, v30, v153 :: v_dual_and_b32 v67, 0xffff0000, v67
	v_fmac_f32_e32 v20, v30, v115
	v_fmac_f32_e32 v16, v30, v123
	;; [unrolled: 1-line block ×3, first 2 shown]
	v_dual_fmac_f32 v17, v30, v121 :: v_dual_lshlrev_b32 v124, 16, v72
	v_fmac_f32_e32 v26, v33, v82
	v_dual_fmac_f32 v15, v30, v129 :: v_dual_and_b32 v72, 0xffff0000, v72
	v_fmac_f32_e32 v23, v31, v43
	v_dual_fmac_f32 v12, v31, v154 :: v_dual_fmac_f32 v13, v30, v145
	v_dual_fmac_f32 v25, v33, v106 :: v_dual_lshlrev_b32 v178, 16, v36
	v_fmac_f32_e32 v20, v31, v55
	v_fmac_f32_e32 v17, v31, v67
	;; [unrolled: 1-line block ×7, first 2 shown]
	v_dual_fmac_f32 v11, v31, v162 :: v_dual_and_b32 v36, 0xffff0000, v36
	v_fmac_f32_e32 v9, v32, v178
	v_fmac_f32_e32 v20, v32, v116
	;; [unrolled: 1-line block ×10, first 2 shown]
	v_dual_fmac_f32 v8, v32, v183 :: v_dual_fmac_f32 v23, v33, v44
	v_fmac_f32_e32 v20, v33, v56
	v_fmac_f32_e32 v17, v33, v68
	;; [unrolled: 1-line block ×12, first 2 shown]
	s_cbranch_scc0 .LBB51_1
; %bb.2:
	v_mbcnt_lo_u32_b32 v5, -1, 0
	v_lshrrev_b32_e32 v28, 5, v0
	s_delay_alu instid0(VALU_DEP_2) | instskip(SKIP_1) | instid1(VALU_DEP_2)
	v_xor_b32_e32 v1, 16, v5
	v_xor_b32_e32 v2, 8, v5
	v_cmp_gt_i32_e32 vcc_lo, 32, v1
	v_cndmask_b32_e32 v1, v5, v1, vcc_lo
	s_delay_alu instid0(VALU_DEP_3) | instskip(SKIP_1) | instid1(VALU_DEP_1)
	v_cmp_gt_i32_e32 vcc_lo, 32, v2
	v_cndmask_b32_e32 v2, v5, v2, vcc_lo
	v_lshlrev_b32_e32 v2, 2, v2
	s_delay_alu instid0(VALU_DEP_4)
	v_lshlrev_b32_e32 v1, 2, v1
	ds_bpermute_b32 v3, v1, v26
	s_waitcnt lgkmcnt(0)
	v_add_f32_e32 v4, v26, v3
	v_xor_b32_e32 v3, 4, v5
	ds_bpermute_b32 v6, v2, v4
	v_cmp_gt_i32_e32 vcc_lo, 32, v3
	s_waitcnt lgkmcnt(0)
	v_dual_cndmask_b32 v3, v5, v3 :: v_dual_add_f32 v6, v4, v6
	s_delay_alu instid0(VALU_DEP_1)
	v_lshlrev_b32_e32 v3, 2, v3
	v_xor_b32_e32 v4, 2, v5
	ds_bpermute_b32 v26, v3, v6
	v_cmp_gt_i32_e32 vcc_lo, 32, v4
	v_cndmask_b32_e32 v4, v5, v4, vcc_lo
	s_waitcnt lgkmcnt(0)
	v_add_f32_e32 v26, v6, v26
	v_xor_b32_e32 v6, 1, v5
	s_delay_alu instid0(VALU_DEP_1) | instskip(SKIP_1) | instid1(VALU_DEP_1)
	v_cmp_gt_i32_e32 vcc_lo, 32, v6
	v_dual_cndmask_b32 v5, v5, v6 :: v_dual_lshlrev_b32 v4, 2, v4
	v_lshlrev_b32_e32 v6, 2, v5
	v_and_b32_e32 v5, 31, v0
	ds_bpermute_b32 v27, v4, v26
	v_cmp_eq_u32_e32 vcc_lo, 0, v5
	s_waitcnt lgkmcnt(0)
	v_dual_add_f32 v26, v26, v27 :: v_dual_lshlrev_b32 v5, 2, v28
	ds_bpermute_b32 v27, v6, v26
	s_and_saveexec_b32 s0, vcc_lo
	s_cbranch_execz .LBB51_4
; %bb.3:
	s_waitcnt lgkmcnt(0)
	v_add_f32_e32 v26, v26, v27
	ds_store_b32 v5, v26
.LBB51_4:
	s_or_b32 exec_lo, exec_lo, s0
	ds_bpermute_b32 v26, v1, v25
	s_waitcnt lgkmcnt(0)
	v_add_f32_e32 v25, v25, v26
	ds_bpermute_b32 v26, v2, v25
	s_waitcnt lgkmcnt(0)
	v_add_f32_e32 v25, v25, v26
	ds_bpermute_b32 v26, v3, v25
	s_waitcnt lgkmcnt(0)
	v_add_f32_e32 v25, v25, v26
	ds_bpermute_b32 v26, v4, v25
	s_waitcnt lgkmcnt(0)
	v_add_f32_e32 v25, v25, v26
	ds_bpermute_b32 v26, v6, v25
	s_and_saveexec_b32 s0, vcc_lo
	s_cbranch_execz .LBB51_6
; %bb.5:
	s_waitcnt lgkmcnt(0)
	v_add_f32_e32 v25, v25, v26
	ds_store_b32 v5, v25 offset:16
.LBB51_6:
	s_or_b32 exec_lo, exec_lo, s0
	ds_bpermute_b32 v25, v1, v24
	s_waitcnt lgkmcnt(0)
	v_add_f32_e32 v24, v24, v25
	ds_bpermute_b32 v25, v2, v24
	s_waitcnt lgkmcnt(0)
	v_add_f32_e32 v24, v24, v25
	ds_bpermute_b32 v25, v3, v24
	s_waitcnt lgkmcnt(0)
	v_add_f32_e32 v24, v24, v25
	ds_bpermute_b32 v25, v4, v24
	s_waitcnt lgkmcnt(0)
	v_add_f32_e32 v24, v24, v25
	ds_bpermute_b32 v25, v6, v24
	s_and_saveexec_b32 s0, vcc_lo
	s_cbranch_execz .LBB51_8
; %bb.7:
	s_waitcnt lgkmcnt(0)
	v_add_f32_e32 v24, v24, v25
	ds_store_b32 v5, v24 offset:32
.LBB51_8:
	;; [unrolled: 21-line block ×19, first 2 shown]
	s_or_b32 exec_lo, exec_lo, s0
	s_waitcnt lgkmcnt(0)
	s_barrier
	buffer_gl0_inv
	s_mov_b32 s0, exec_lo
	v_cmpx_eq_u32_e32 0, v0
	s_cbranch_execz .LBB51_44
; %bb.43:
	v_mov_b32_e32 v40, 0
	s_ashr_i32 s3, s2, 31
	ds_load_b128 v[0:3], v40
	ds_load_b128 v[4:7], v40 offset:16
	ds_load_b128 v[8:11], v40 offset:32
	;; [unrolled: 1-line block ×7, first 2 shown]
	s_lshl_b64 s[0:1], s[2:3], 2
	s_delay_alu instid0(SALU_CYCLE_1)
	s_add_u32 s0, s4, s0
	s_addc_u32 s1, s5, s1
	s_waitcnt lgkmcnt(4)
	v_add_f32_e32 v12, 0, v12
	v_add_f32_e32 v0, 0, v0
	s_waitcnt lgkmcnt(2)
	v_add_f32_e32 v20, 0, v20
	v_add_f32_e32 v4, 0, v4
	;; [unrolled: 1-line block ×3, first 2 shown]
	s_waitcnt lgkmcnt(0)
	v_add_f32_e32 v28, 0, v28
	v_add_f32_e32 v0, v0, v1
	v_dual_add_f32 v8, 0, v8 :: v_dual_add_f32 v1, v4, v5
	ds_load_b128 v[32:35], v40 offset:128
	ds_load_b128 v[36:39], v40 offset:144
	v_add_f32_e32 v0, v0, v2
	v_add_f32_e32 v1, v1, v6
	;; [unrolled: 1-line block ×8, first 2 shown]
	s_delay_alu instid0(VALU_DEP_4)
	v_dual_add_f32 v21, v1, v7 :: v_dual_add_f32 v2, v4, v10
	v_dual_add_f32 v10, v13, v30 :: v_dual_mov_b32 v29, 0x1000
	s_waitcnt lgkmcnt(1)
	v_add_f32_e32 v0, 0, v32
	v_add_f32_e32 v4, v5, v14
	v_dual_add_f32 v24, 0, v24 :: v_dual_add_f32 v5, v8, v18
	v_add_f32_e32 v8, v9, v22
	s_delay_alu instid0(VALU_DEP_2) | instskip(SKIP_1) | instid1(VALU_DEP_4)
	v_add_f32_e32 v12, v24, v25
	v_add_f32_e32 v24, v2, v11
	v_dual_add_f32 v28, v5, v19 :: v_dual_add_f32 v11, v0, v33
	v_add_f32_e32 v25, v4, v15
	ds_load_b128 v[0:3], v40 offset:160
	ds_load_b128 v[4:7], v40 offset:176
	v_add_f32_e32 v22, v8, v23
	s_waitcnt lgkmcnt(1)
	v_add_f32_e32 v0, 0, v0
	s_waitcnt lgkmcnt(0)
	v_add_f32_e32 v4, 0, v4
	s_delay_alu instid0(VALU_DEP_2) | instskip(NEXT) | instid1(VALU_DEP_2)
	v_add_f32_e32 v0, v0, v1
	v_add_f32_e32 v1, v4, v5
	s_delay_alu instid0(VALU_DEP_2) | instskip(NEXT) | instid1(VALU_DEP_2)
	v_add_f32_e32 v0, v0, v2
	v_add_f32_e32 v1, v1, v6
	v_dual_add_f32 v9, v12, v26 :: v_dual_add_f32 v12, 0, v36
	v_add_f32_e32 v26, v10, v31
	s_delay_alu instid0(VALU_DEP_4) | instskip(NEXT) | instid1(VALU_DEP_4)
	v_add_f32_e32 v0, v0, v3
	v_add_f32_e32 v1, v1, v7
	s_delay_alu instid0(VALU_DEP_4)
	v_add_f32_e32 v23, v9, v27
	v_dual_add_f32 v27, v11, v34 :: v_dual_add_f32 v30, v12, v37
	ds_load_b128 v[8:11], v40 offset:192
	ds_load_b128 v[12:15], v40 offset:208
	;; [unrolled: 1-line block ×3, first 2 shown]
	v_dual_mov_b32 v6, 0x3000 :: v_dual_add_f32 v41, v27, v35
	s_waitcnt lgkmcnt(2)
	v_add_f32_e32 v4, 0, v8
	s_waitcnt lgkmcnt(1)
	v_add_f32_e32 v5, 0, v12
	;; [unrolled: 2-line block ×3, first 2 shown]
	v_add_f32_e32 v4, v4, v9
	s_delay_alu instid0(VALU_DEP_3) | instskip(NEXT) | instid1(VALU_DEP_3)
	v_add_f32_e32 v2, v5, v13
	v_add_f32_e32 v5, v8, v17
	s_delay_alu instid0(VALU_DEP_3) | instskip(NEXT) | instid1(VALU_DEP_3)
	v_add_f32_e32 v4, v4, v10
	v_add_f32_e32 v2, v2, v14
	s_delay_alu instid0(VALU_DEP_3)
	v_add_f32_e32 v3, v5, v18
	s_clause 0x7
	global_store_b32 v40, v20, s[0:1]
	global_store_b32 v40, v21, s[0:1] offset:1024
	global_store_b32 v40, v24, s[0:1] offset:2048
	;; [unrolled: 1-line block ×3, first 2 shown]
	global_store_b32 v29, v28, s[0:1]
	global_store_b32 v29, v22, s[0:1] offset:1024
	global_store_b32 v29, v23, s[0:1] offset:2048
	;; [unrolled: 1-line block ×3, first 2 shown]
	v_add_f32_e32 v20, v30, v38
	ds_load_b128 v[24:27], v40 offset:256
	v_add_f32_e32 v4, v4, v11
	v_add_f32_e32 v2, v2, v15
	v_add_f32_e32 v3, v3, v19
	v_add_f32_e32 v43, v20, v39
	ds_load_b128 v[20:23], v40 offset:240
	ds_load_b128 v[28:31], v40 offset:272
	;; [unrolled: 1-line block ×4, first 2 shown]
	v_mov_b32_e32 v11, 0x4000
	s_waitcnt lgkmcnt(4)
	v_add_f32_e32 v7, 0, v24
	s_waitcnt lgkmcnt(2)
	v_add_f32_e32 v8, 0, v28
	v_add_f32_e32 v5, 0, v20
	s_waitcnt lgkmcnt(1)
	v_add_f32_e32 v9, 0, v32
	s_waitcnt lgkmcnt(0)
	v_dual_add_f32 v10, 0, v36 :: v_dual_add_f32 v7, v7, v25
	v_add_f32_e32 v8, v8, v29
	v_add_f32_e32 v5, v5, v21
	;; [unrolled: 1-line block ×3, first 2 shown]
	s_delay_alu instid0(VALU_DEP_4) | instskip(SKIP_1) | instid1(VALU_DEP_4)
	v_add_f32_e32 v10, v10, v37
	v_dual_mov_b32 v42, 0x2000 :: v_dual_add_f32 v7, v7, v26
	v_add_f32_e32 v5, v5, v22
	v_add_f32_e32 v8, v8, v30
	;; [unrolled: 1-line block ×3, first 2 shown]
	s_delay_alu instid0(VALU_DEP_4) | instskip(NEXT) | instid1(VALU_DEP_4)
	v_dual_add_f32 v10, v10, v38 :: v_dual_add_f32 v7, v7, v27
	v_add_f32_e32 v5, v5, v23
	s_delay_alu instid0(VALU_DEP_4) | instskip(NEXT) | instid1(VALU_DEP_4)
	v_add_f32_e32 v8, v8, v31
	v_add_f32_e32 v9, v9, v35
	s_delay_alu instid0(VALU_DEP_4)
	v_add_f32_e32 v10, v10, v39
	s_clause 0xb
	global_store_b32 v42, v41, s[0:1]
	global_store_b32 v42, v43, s[0:1] offset:1024
	global_store_b32 v42, v0, s[0:1] offset:2048
	global_store_b32 v42, v1, s[0:1] offset:3072
	global_store_b32 v6, v4, s[0:1]
	global_store_b32 v6, v2, s[0:1] offset:1024
	global_store_b32 v6, v3, s[0:1] offset:2048
	global_store_b32 v6, v5, s[0:1] offset:3072
	;; [unrolled: 4-line block ×3, first 2 shown]
.LBB51_44:
	s_nop 0
	s_sendmsg sendmsg(MSG_DEALLOC_VGPRS)
	s_endpgm
	.section	.rodata,"a",@progbits
	.p2align	6, 0x0
	.amdhsa_kernel _Z23fp32_router_gemm_kernelI14__hip_bfloat16Li128ELi20ELi256ELi3072EEvPfPKT_PKf
		.amdhsa_group_segment_fixed_size 320
		.amdhsa_private_segment_fixed_size 0
		.amdhsa_kernarg_size 24
		.amdhsa_user_sgpr_count 15
		.amdhsa_user_sgpr_dispatch_ptr 0
		.amdhsa_user_sgpr_queue_ptr 0
		.amdhsa_user_sgpr_kernarg_segment_ptr 1
		.amdhsa_user_sgpr_dispatch_id 0
		.amdhsa_user_sgpr_private_segment_size 0
		.amdhsa_wavefront_size32 1
		.amdhsa_uses_dynamic_stack 0
		.amdhsa_enable_private_segment 0
		.amdhsa_system_sgpr_workgroup_id_x 1
		.amdhsa_system_sgpr_workgroup_id_y 0
		.amdhsa_system_sgpr_workgroup_id_z 0
		.amdhsa_system_sgpr_workgroup_info 0
		.amdhsa_system_vgpr_workitem_id 0
		.amdhsa_next_free_vgpr 192
		.amdhsa_next_free_sgpr 16
		.amdhsa_reserve_vcc 1
		.amdhsa_float_round_mode_32 0
		.amdhsa_float_round_mode_16_64 0
		.amdhsa_float_denorm_mode_32 3
		.amdhsa_float_denorm_mode_16_64 3
		.amdhsa_dx10_clamp 1
		.amdhsa_ieee_mode 1
		.amdhsa_fp16_overflow 0
		.amdhsa_workgroup_processor_mode 1
		.amdhsa_memory_ordered 1
		.amdhsa_forward_progress 0
		.amdhsa_shared_vgpr_count 0
		.amdhsa_exception_fp_ieee_invalid_op 0
		.amdhsa_exception_fp_denorm_src 0
		.amdhsa_exception_fp_ieee_div_zero 0
		.amdhsa_exception_fp_ieee_overflow 0
		.amdhsa_exception_fp_ieee_underflow 0
		.amdhsa_exception_fp_ieee_inexact 0
		.amdhsa_exception_int_div_zero 0
	.end_amdhsa_kernel
	.section	.text._Z23fp32_router_gemm_kernelI14__hip_bfloat16Li128ELi20ELi256ELi3072EEvPfPKT_PKf,"axG",@progbits,_Z23fp32_router_gemm_kernelI14__hip_bfloat16Li128ELi20ELi256ELi3072EEvPfPKT_PKf,comdat
.Lfunc_end51:
	.size	_Z23fp32_router_gemm_kernelI14__hip_bfloat16Li128ELi20ELi256ELi3072EEvPfPKT_PKf, .Lfunc_end51-_Z23fp32_router_gemm_kernelI14__hip_bfloat16Li128ELi20ELi256ELi3072EEvPfPKT_PKf
                                        ; -- End function
	.section	.AMDGPU.csdata,"",@progbits
; Kernel info:
; codeLenInByte = 5452
; NumSgprs: 18
; NumVgprs: 192
; ScratchSize: 0
; MemoryBound: 0
; FloatMode: 240
; IeeeMode: 1
; LDSByteSize: 320 bytes/workgroup (compile time only)
; SGPRBlocks: 2
; VGPRBlocks: 23
; NumSGPRsForWavesPerEU: 18
; NumVGPRsForWavesPerEU: 192
; Occupancy: 8
; WaveLimiterHint : 1
; COMPUTE_PGM_RSRC2:SCRATCH_EN: 0
; COMPUTE_PGM_RSRC2:USER_SGPR: 15
; COMPUTE_PGM_RSRC2:TRAP_HANDLER: 0
; COMPUTE_PGM_RSRC2:TGID_X_EN: 1
; COMPUTE_PGM_RSRC2:TGID_Y_EN: 0
; COMPUTE_PGM_RSRC2:TGID_Z_EN: 0
; COMPUTE_PGM_RSRC2:TIDIG_COMP_CNT: 0
	.section	.text._Z23fp32_router_gemm_kernelI14__hip_bfloat16Li128ELi21ELi256ELi3072EEvPfPKT_PKf,"axG",@progbits,_Z23fp32_router_gemm_kernelI14__hip_bfloat16Li128ELi21ELi256ELi3072EEvPfPKT_PKf,comdat
	.protected	_Z23fp32_router_gemm_kernelI14__hip_bfloat16Li128ELi21ELi256ELi3072EEvPfPKT_PKf ; -- Begin function _Z23fp32_router_gemm_kernelI14__hip_bfloat16Li128ELi21ELi256ELi3072EEvPfPKT_PKf
	.globl	_Z23fp32_router_gemm_kernelI14__hip_bfloat16Li128ELi21ELi256ELi3072EEvPfPKT_PKf
	.p2align	8
	.type	_Z23fp32_router_gemm_kernelI14__hip_bfloat16Li128ELi21ELi256ELi3072EEvPfPKT_PKf,@function
_Z23fp32_router_gemm_kernelI14__hip_bfloat16Li128ELi21ELi256ELi3072EEvPfPKT_PKf: ; @_Z23fp32_router_gemm_kernelI14__hip_bfloat16Li128ELi21ELi256ELi3072EEvPfPKT_PKf
; %bb.0:
	s_clause 0x1
	s_load_b128 s[4:7], s[0:1], 0x0
	s_load_b64 s[0:1], s[0:1], 0x10
	v_dual_mov_b32 v27, 0 :: v_dual_lshlrev_b32 v28, 3, v0
	s_mul_i32 s8, s15, 0xc00
	v_dual_mov_b32 v26, 0 :: v_dual_mov_b32 v25, 0
	s_ashr_i32 s9, s8, 31
	s_delay_alu instid0(VALU_DEP_2)
	v_or_b32_e32 v29, 0x400, v28
	s_lshl_b64 s[8:9], s[8:9], 2
	v_or_b32_e32 v30, 0x800, v28
	v_dual_mov_b32 v24, 0 :: v_dual_mov_b32 v23, 0
	v_dual_mov_b32 v22, 0 :: v_dual_mov_b32 v21, 0
	;; [unrolled: 1-line block ×9, first 2 shown]
	s_waitcnt lgkmcnt(0)
	s_add_u32 s0, s0, s8
	s_mov_b32 s2, s15
	s_addc_u32 s1, s1, s9
	s_mov_b64 s[8:9], 0
.LBB52_1:                               ; =>This Inner Loop Header: Depth=1
	s_delay_alu instid0(SALU_CYCLE_1)
	s_cmp_eq_u32 s8, 1
	s_cselect_b32 vcc_lo, -1, 0
	s_cmp_eq_u32 s8, 2
	v_cndmask_b32_e32 v1, v28, v29, vcc_lo
	s_cselect_b32 vcc_lo, -1, 0
	s_add_u32 s8, s8, 1
	s_addc_u32 s9, s9, 0
	s_cmp_eq_u32 s8, 3
	v_cndmask_b32_e32 v31, v1, v30, vcc_lo
	s_delay_alu instid0(VALU_DEP_1) | instskip(NEXT) | instid1(VALU_DEP_1)
	v_lshlrev_b32_e32 v1, 1, v31
	v_add_co_u32 v32, s3, s6, v1
	s_delay_alu instid0(VALU_DEP_1)
	v_add_co_ci_u32_e64 v33, null, s7, 0, s3
	global_load_b128 v[1:4], v1, s[6:7]
	v_add_co_u32 v5, vcc_lo, 0x1000, v32
	v_add_co_ci_u32_e32 v6, vcc_lo, 0, v33, vcc_lo
	v_add_co_u32 v38, vcc_lo, 0x3000, v32
	v_add_co_ci_u32_e32 v39, vcc_lo, 0, v33, vcc_lo
	;; [unrolled: 2-line block ×10, first 2 shown]
	s_clause 0x9
	global_load_b128 v[34:37], v[5:6], off offset:2048
	global_load_b128 v[38:41], v[38:39], off
	global_load_b128 v[42:45], v[42:43], off offset:2048
	global_load_b128 v[46:49], v[46:47], off
	;; [unrolled: 2-line block ×5, first 2 shown]
	v_add_co_u32 v74, vcc_lo, 0x10000, v32
	v_add_co_ci_u32_e32 v75, vcc_lo, 0, v33, vcc_lo
	s_waitcnt vmcnt(10)
	v_lshlrev_b32_e32 v76, 16, v1
	v_lshlrev_b32_e32 v78, 16, v2
	;; [unrolled: 1-line block ×4, first 2 shown]
	s_waitcnt vmcnt(9)
	v_and_b32_e32 v93, 0xffff0000, v34
	v_lshlrev_b32_e32 v94, 16, v35
	v_and_b32_e32 v103, 0xffff0000, v35
	s_waitcnt vmcnt(6)
	v_lshlrev_b32_e32 v87, 16, v46
	v_lshlrev_b32_e32 v86, 16, v42
	v_and_b32_e32 v81, 0xffff0000, v3
	s_waitcnt vmcnt(4)
	v_lshlrev_b32_e32 v89, 16, v54
	;; [unrolled: 4-line block ×4, first 2 shown]
	v_lshlrev_b32_e32 v85, 16, v38
	v_lshlrev_b32_e32 v84, 16, v34
	v_and_b32_e32 v77, 0xffff0000, v1
	v_lshlrev_b32_e32 v82, 16, v4
	global_load_b128 v[1:4], v[74:75], off offset:2048
	v_lshlrev_b32_e32 v104, 16, v36
	v_and_b32_e32 v105, 0xffff0000, v36
	v_lshlrev_b32_e32 v106, 16, v37
	v_and_b32_e32 v107, 0xffff0000, v37
	s_waitcnt vmcnt(0)
	v_lshlrev_b32_e32 v126, 16, v1
	v_and_b32_e32 v127, 0xffff0000, v1
	v_add_co_u32 v1, vcc_lo, 0x12000, v32
	v_lshlrev_b32_e32 v128, 16, v2
	v_and_b32_e32 v129, 0xffff0000, v2
	v_add_co_ci_u32_e32 v2, vcc_lo, 0, v33, vcc_lo
	v_add_co_u32 v5, vcc_lo, 0x13000, v32
	v_add_co_ci_u32_e32 v6, vcc_lo, 0, v33, vcc_lo
	v_lshlrev_b32_e32 v130, 16, v3
	v_and_b32_e32 v131, 0xffff0000, v3
	v_lshlrev_b32_e32 v132, 16, v4
	v_and_b32_e32 v133, 0xffff0000, v4
	s_clause 0x1
	global_load_b128 v[1:4], v[1:2], off
	global_load_b128 v[34:37], v[5:6], off offset:2048
	s_waitcnt vmcnt(1)
	v_lshlrev_b32_e32 v134, 16, v1
	v_and_b32_e32 v135, 0xffff0000, v1
	v_add_co_u32 v1, vcc_lo, 0x15000, v32
	v_lshlrev_b32_e32 v136, 16, v2
	v_and_b32_e32 v137, 0xffff0000, v2
	v_add_co_ci_u32_e32 v2, vcc_lo, 0, v33, vcc_lo
	v_add_co_u32 v5, vcc_lo, 0x16000, v32
	v_add_co_ci_u32_e32 v6, vcc_lo, 0, v33, vcc_lo
	v_lshlrev_b32_e32 v138, 16, v3
	v_and_b32_e32 v139, 0xffff0000, v3
	v_lshlrev_b32_e32 v140, 16, v4
	v_and_b32_e32 v141, 0xffff0000, v4
	s_waitcnt vmcnt(0)
	v_lshlrev_b32_e32 v142, 16, v34
	v_and_b32_e32 v143, 0xffff0000, v34
	v_lshlrev_b32_e32 v144, 16, v35
	v_and_b32_e32 v145, 0xffff0000, v35
	;; [unrolled: 2-line block ×4, first 2 shown]
	s_clause 0x1
	global_load_b128 v[1:4], v[1:2], off
	global_load_b128 v[34:37], v[5:6], off offset:2048
	s_waitcnt vmcnt(1)
	v_lshlrev_b32_e32 v150, 16, v1
	v_and_b32_e32 v151, 0xffff0000, v1
	v_add_co_u32 v1, vcc_lo, 0x18000, v32
	v_lshlrev_b32_e32 v152, 16, v2
	v_and_b32_e32 v153, 0xffff0000, v2
	v_add_co_ci_u32_e32 v2, vcc_lo, 0, v33, vcc_lo
	v_add_co_u32 v5, vcc_lo, 0x19000, v32
	v_add_co_ci_u32_e32 v6, vcc_lo, 0, v33, vcc_lo
	v_lshlrev_b32_e32 v154, 16, v3
	v_and_b32_e32 v155, 0xffff0000, v3
	v_lshlrev_b32_e32 v156, 16, v4
	v_and_b32_e32 v157, 0xffff0000, v4
	s_waitcnt vmcnt(0)
	v_lshlrev_b32_e32 v158, 16, v34
	v_and_b32_e32 v159, 0xffff0000, v34
	v_lshlrev_b32_e32 v160, 16, v35
	v_and_b32_e32 v161, 0xffff0000, v35
	;; [unrolled: 2-line block ×4, first 2 shown]
	s_clause 0x1
	global_load_b128 v[1:4], v[1:2], off
	global_load_b128 v[34:37], v[5:6], off offset:2048
	s_waitcnt vmcnt(1)
	v_lshlrev_b32_e32 v166, 16, v1
	v_and_b32_e32 v167, 0xffff0000, v1
	v_add_co_u32 v1, vcc_lo, 0x1b000, v32
	v_lshlrev_b32_e32 v168, 16, v2
	v_and_b32_e32 v169, 0xffff0000, v2
	v_add_co_ci_u32_e32 v2, vcc_lo, 0, v33, vcc_lo
	v_add_co_u32 v5, vcc_lo, 0x1c000, v32
	v_add_co_ci_u32_e32 v6, vcc_lo, 0, v33, vcc_lo
	v_lshlrev_b32_e32 v170, 16, v3
	v_and_b32_e32 v171, 0xffff0000, v3
	v_lshlrev_b32_e32 v172, 16, v4
	v_and_b32_e32 v173, 0xffff0000, v4
	s_waitcnt vmcnt(0)
	v_lshlrev_b32_e32 v174, 16, v34
	v_lshlrev_b32_e32 v176, 16, v35
	v_and_b32_e32 v177, 0xffff0000, v35
	v_lshlrev_b32_e32 v178, 16, v36
	v_and_b32_e32 v179, 0xffff0000, v36
	;; [unrolled: 2-line block ×3, first 2 shown]
	v_and_b32_e32 v181, 0xffff0000, v37
	s_clause 0x1
	global_load_b128 v[1:4], v[1:2], off
	global_load_b128 v[34:37], v[5:6], off offset:2048
	s_waitcnt vmcnt(1)
	v_lshlrev_b32_e32 v5, 16, v1
	v_and_b32_e32 v6, 0xffff0000, v1
	v_add_co_u32 v1, vcc_lo, 0x1e000, v32
	v_lshlrev_b32_e32 v182, 16, v2
	v_and_b32_e32 v183, 0xffff0000, v2
	v_add_co_ci_u32_e32 v2, vcc_lo, 0, v33, vcc_lo
	v_lshlrev_b32_e32 v184, 16, v3
	v_and_b32_e32 v185, 0xffff0000, v3
	v_lshlrev_b32_e32 v186, 16, v4
	v_and_b32_e32 v187, 0xffff0000, v4
	global_load_b128 v[1:4], v[1:2], off
	s_waitcnt vmcnt(1)
	v_lshlrev_b32_e32 v188, 16, v34
	v_and_b32_e32 v189, 0xffff0000, v34
	s_waitcnt vmcnt(0)
	v_lshlrev_b32_e32 v193, 16, v1
	v_and_b32_e32 v194, 0xffff0000, v1
	v_lshlrev_b32_e32 v195, 16, v2
	v_and_b32_e32 v196, 0xffff0000, v2
	;; [unrolled: 2-line block ×4, first 2 shown]
	s_clause 0x1
	global_load_b128 v[1:4], v31, s[0:1]
	global_load_b128 v[31:34], v31, s[0:1] offset:16
	v_lshlrev_b32_e32 v99, 16, v55
	v_lshlrev_b32_e32 v102, 16, v67
	v_and_b32_e32 v38, 0xffff0000, v38
	v_lshlrev_b32_e32 v190, 16, v35
	v_and_b32_e32 v35, 0xffff0000, v35
	v_lshlrev_b32_e32 v191, 16, v36
	v_lshlrev_b32_e32 v97, 16, v47
	s_waitcnt vmcnt(1)
	v_dual_fmac_f32 v12, v1, v158 :: v_dual_lshlrev_b32 v101, 16, v63
	v_fmac_f32_e32 v27, v1, v76
	v_fmac_f32_e32 v11, v1, v166
	v_dual_fmac_f32 v9, v1, v5 :: v_dual_and_b32 v54, 0xffff0000, v54
	s_delay_alu instid0(VALU_DEP_4) | instskip(SKIP_3) | instid1(VALU_DEP_4)
	v_dual_fmac_f32 v12, v2, v159 :: v_dual_lshlrev_b32 v111, 16, v45
	v_fmac_f32_e32 v18, v1, v92
	v_fmac_f32_e32 v25, v1, v85
	v_fmac_f32_e32 v26, v1, v84
	v_dual_fmac_f32 v12, v3, v160 :: v_dual_fmac_f32 v27, v2, v77
	v_dual_fmac_f32 v11, v2, v167 :: v_dual_fmac_f32 v8, v1, v188
	s_delay_alu instid0(VALU_DEP_2) | instskip(NEXT) | instid1(VALU_DEP_3)
	v_dual_fmac_f32 v23, v1, v87 :: v_dual_fmac_f32 v12, v4, v161
	v_fmac_f32_e32 v27, v3, v78
	s_delay_alu instid0(VALU_DEP_3) | instskip(SKIP_3) | instid1(VALU_DEP_3)
	v_fmac_f32_e32 v11, v3, v168
	v_dual_fmac_f32 v16, v1, v126 :: v_dual_lshlrev_b32 v95, 16, v39
	s_waitcnt vmcnt(0)
	v_fmac_f32_e32 v12, v31, v162
	v_dual_fmac_f32 v11, v4, v169 :: v_dual_lshlrev_b32 v124, 16, v72
	v_fmac_f32_e32 v24, v1, v86
	v_dual_fmac_f32 v16, v2, v127 :: v_dual_fmac_f32 v21, v1, v89
	v_fmac_f32_e32 v22, v1, v88
	v_dual_fmac_f32 v27, v4, v79 :: v_dual_and_b32 v42, 0xffff0000, v42
	v_fmac_f32_e32 v7, v1, v193
	v_fmac_f32_e32 v25, v2, v38
	v_dual_fmac_f32 v8, v2, v189 :: v_dual_fmac_f32 v11, v31, v170
	s_delay_alu instid0(VALU_DEP_4) | instskip(SKIP_2) | instid1(VALU_DEP_3)
	v_fmac_f32_e32 v27, v31, v80
	v_and_b32_e32 v72, 0xffff0000, v72
	v_dual_fmac_f32 v13, v1, v150 :: v_dual_lshlrev_b32 v100, 16, v59
	v_dual_fmac_f32 v27, v32, v81 :: v_dual_and_b32 v50, 0xffff0000, v50
	v_dual_fmac_f32 v25, v3, v95 :: v_dual_and_b32 v58, 0xffff0000, v58
	v_dual_fmac_f32 v8, v3, v190 :: v_dual_lshlrev_b32 v113, 16, v49
	s_delay_alu instid0(VALU_DEP_3)
	v_dual_fmac_f32 v27, v33, v82 :: v_dual_lshlrev_b32 v98, 16, v51
	v_fmac_f32_e32 v15, v1, v134
	v_and_b32_e32 v51, 0xffff0000, v51
	v_fmac_f32_e32 v13, v2, v151
	v_dual_fmac_f32 v22, v2, v50 :: v_dual_and_b32 v39, 0xffff0000, v39
	v_dual_fmac_f32 v21, v2, v54 :: v_dual_lshlrev_b32 v108, 16, v40
	v_dual_fmac_f32 v7, v2, v194 :: v_dual_lshlrev_b32 v112, 16, v48
	v_lshlrev_b32_e32 v116, 16, v56
	s_delay_alu instid0(VALU_DEP_4) | instskip(SKIP_3) | instid1(VALU_DEP_4)
	v_dual_fmac_f32 v25, v4, v39 :: v_dual_and_b32 v56, 0xffff0000, v56
	v_dual_fmac_f32 v8, v4, v35 :: v_dual_lshlrev_b32 v119, 16, v61
	v_dual_fmac_f32 v14, v1, v142 :: v_dual_and_b32 v63, 0xffff0000, v63
	v_fmac_f32_e32 v22, v3, v98
	v_fmac_f32_e32 v25, v31, v108
	s_delay_alu instid0(VALU_DEP_4)
	v_fmac_f32_e32 v8, v31, v191
	v_dual_fmac_f32 v15, v2, v135 :: v_dual_and_b32 v46, 0xffff0000, v46
	v_lshlrev_b32_e32 v74, 16, v70
	v_dual_fmac_f32 v16, v3, v128 :: v_dual_lshlrev_b32 v109, 16, v41
	v_dual_fmac_f32 v13, v3, v152 :: v_dual_and_b32 v70, 0xffff0000, v70
	v_fmac_f32_e32 v24, v2, v42
	v_fmac_f32_e32 v14, v2, v143
	;; [unrolled: 1-line block ×3, first 2 shown]
	v_dual_fmac_f32 v20, v1, v90 :: v_dual_fmac_f32 v15, v3, v136
	v_dual_fmac_f32 v17, v1, v74 :: v_dual_lshlrev_b32 v96, 16, v43
	s_delay_alu instid0(VALU_DEP_2) | instskip(NEXT) | instid1(VALU_DEP_2)
	v_dual_fmac_f32 v20, v2, v58 :: v_dual_and_b32 v43, 0xffff0000, v43
	v_dual_fmac_f32 v24, v3, v96 :: v_dual_and_b32 v59, 0xffff0000, v59
	s_delay_alu instid0(VALU_DEP_3)
	v_dual_fmac_f32 v17, v2, v70 :: v_dual_lshlrev_b32 v110, 16, v44
	v_lshlrev_b32_e32 v115, 16, v53
	v_dual_fmac_f32 v22, v4, v51 :: v_dual_and_b32 v53, 0xffff0000, v53
	v_dual_fmac_f32 v16, v4, v129 :: v_dual_lshlrev_b32 v75, 16, v71
	v_lshlrev_b32_e32 v114, 16, v52
	v_dual_fmac_f32 v21, v3, v99 :: v_dual_and_b32 v66, 0xffff0000, v66
	v_dual_fmac_f32 v9, v2, v6 :: v_dual_and_b32 v44, 0xffff0000, v44
	v_and_b32_e32 v52, 0xffff0000, v52
	v_dual_fmac_f32 v26, v2, v93 :: v_dual_and_b32 v55, 0xffff0000, v55
	v_fmac_f32_e32 v23, v2, v46
	v_fmac_f32_e32 v17, v3, v75
	;; [unrolled: 1-line block ×3, first 2 shown]
	s_delay_alu instid0(VALU_DEP_4)
	v_dual_fmac_f32 v26, v3, v94 :: v_dual_lshlrev_b32 v121, 16, v65
	v_dual_fmac_f32 v22, v31, v114 :: v_dual_and_b32 v65, 0xffff0000, v65
	v_dual_fmac_f32 v23, v3, v97 :: v_dual_and_b32 v62, 0xffff0000, v62
	;; [unrolled: 1-line block ×3, first 2 shown]
	v_lshlrev_b32_e32 v118, 16, v60
	v_dual_fmac_f32 v21, v4, v55 :: v_dual_and_b32 v60, 0xffff0000, v60
	v_dual_fmac_f32 v9, v3, v182 :: v_dual_fmac_f32 v22, v32, v52
	v_dual_fmac_f32 v19, v2, v62 :: v_dual_and_b32 v40, 0xffff0000, v40
	v_fmac_f32_e32 v7, v3, v195
	s_delay_alu instid0(VALU_DEP_3) | instskip(SKIP_2) | instid1(VALU_DEP_3)
	v_dual_fmac_f32 v21, v31, v116 :: v_dual_fmac_f32 v22, v33, v115
	v_fmac_f32_e32 v12, v32, v163
	v_dual_fmac_f32 v20, v3, v100 :: v_dual_and_b32 v67, 0xffff0000, v67
	v_fmac_f32_e32 v21, v32, v56
	s_delay_alu instid0(VALU_DEP_3) | instskip(SKIP_1) | instid1(VALU_DEP_4)
	v_dual_fmac_f32 v12, v33, v164 :: v_dual_lshlrev_b32 v117, 16, v57
	v_fmac_f32_e32 v11, v32, v171
	v_fmac_f32_e32 v20, v4, v59
	;; [unrolled: 1-line block ×3, first 2 shown]
	v_dual_fmac_f32 v19, v3, v101 :: v_dual_and_b32 v48, 0xffff0000, v48
	v_dual_fmac_f32 v23, v4, v47 :: v_dual_lshlrev_b32 v120, 16, v64
	s_delay_alu instid0(VALU_DEP_4) | instskip(NEXT) | instid1(VALU_DEP_3)
	v_dual_fmac_f32 v20, v31, v118 :: v_dual_lshlrev_b32 v123, 16, v69
	v_fmac_f32_e32 v19, v4, v63
	v_fmac_f32_e32 v25, v32, v40
	s_delay_alu instid0(VALU_DEP_4) | instskip(SKIP_1) | instid1(VALU_DEP_4)
	v_dual_fmac_f32 v23, v31, v112 :: v_dual_fmac_f32 v22, v34, v53
	v_fmac_f32_e32 v9, v4, v183
	v_fmac_f32_e32 v19, v31, v120
	v_dual_fmac_f32 v14, v3, v144 :: v_dual_and_b32 v41, 0xffff0000, v41
	v_dual_fmac_f32 v20, v32, v60 :: v_dual_and_b32 v71, 0xffff0000, v71
	v_fmac_f32_e32 v25, v33, v109
	v_dual_fmac_f32 v26, v4, v103 :: v_dual_and_b32 v49, 0xffff0000, v49
	s_delay_alu instid0(VALU_DEP_4) | instskip(NEXT) | instid1(VALU_DEP_4)
	v_fmac_f32_e32 v14, v4, v145
	v_dual_fmac_f32 v17, v4, v71 :: v_dual_and_b32 v64, 0xffff0000, v64
	s_delay_alu instid0(VALU_DEP_3) | instskip(SKIP_1) | instid1(VALU_DEP_3)
	v_dual_fmac_f32 v26, v31, v104 :: v_dual_and_b32 v61, 0xffff0000, v61
	v_fmac_f32_e32 v23, v32, v48
	v_fmac_f32_e32 v19, v32, v64
	;; [unrolled: 1-line block ×3, first 2 shown]
	v_dual_fmac_f32 v9, v31, v184 :: v_dual_fmac_f32 v20, v33, v119
	v_fmac_f32_e32 v25, v34, v41
	v_dual_fmac_f32 v7, v4, v196 :: v_dual_fmac_f32 v10, v2, v175
	v_dual_fmac_f32 v24, v31, v110 :: v_dual_fmac_f32 v23, v33, v113
	v_fmac_f32_e32 v19, v33, v121
	s_delay_alu instid0(VALU_DEP_3) | instskip(SKIP_3) | instid1(VALU_DEP_4)
	v_fmac_f32_e32 v7, v31, v197
	v_fmac_f32_e32 v20, v34, v61
	v_dual_fmac_f32 v9, v32, v185 :: v_dual_and_b32 v36, 0xffff0000, v36
	v_fmac_f32_e32 v23, v34, v49
	v_fmac_f32_e32 v7, v32, v198
	v_dual_fmac_f32 v10, v3, v176 :: v_dual_and_b32 v45, 0xffff0000, v45
	s_delay_alu instid0(VALU_DEP_4) | instskip(NEXT) | instid1(VALU_DEP_3)
	v_dual_fmac_f32 v9, v33, v186 :: v_dual_lshlrev_b32 v192, 16, v37
	v_dual_fmac_f32 v7, v33, v199 :: v_dual_fmac_f32 v8, v32, v36
	v_fmac_f32_e32 v24, v32, v44
	v_dual_fmac_f32 v18, v3, v102 :: v_dual_and_b32 v57, 0xffff0000, v57
	v_fmac_f32_e32 v26, v32, v105
	s_delay_alu instid0(VALU_DEP_4) | instskip(SKIP_1) | instid1(VALU_DEP_4)
	v_fmac_f32_e32 v8, v33, v192
	v_fmac_f32_e32 v10, v4, v177
	;; [unrolled: 1-line block ×4, first 2 shown]
	v_dual_fmac_f32 v15, v4, v137 :: v_dual_lshlrev_b32 v122, 16, v68
	s_delay_alu instid0(VALU_DEP_4) | instskip(NEXT) | instid1(VALU_DEP_3)
	v_dual_fmac_f32 v10, v31, v178 :: v_dual_and_b32 v69, 0xffff0000, v69
	v_fmac_f32_e32 v24, v34, v45
	s_delay_alu instid0(VALU_DEP_3) | instskip(SKIP_1) | instid1(VALU_DEP_4)
	v_dual_fmac_f32 v18, v31, v122 :: v_dual_lshlrev_b32 v125, 16, v73
	v_fmac_f32_e32 v16, v31, v130
	v_fmac_f32_e32 v10, v32, v179
	v_dual_fmac_f32 v13, v4, v153 :: v_dual_and_b32 v68, 0xffff0000, v68
	v_fmac_f32_e32 v17, v31, v124
	s_delay_alu instid0(VALU_DEP_4) | instskip(NEXT) | instid1(VALU_DEP_3)
	v_dual_fmac_f32 v15, v31, v138 :: v_dual_fmac_f32 v16, v32, v131
	v_dual_fmac_f32 v18, v32, v68 :: v_dual_fmac_f32 v13, v31, v154
	v_dual_fmac_f32 v14, v31, v146 :: v_dual_and_b32 v73, 0xffff0000, v73
	s_delay_alu instid0(VALU_DEP_4) | instskip(NEXT) | instid1(VALU_DEP_4)
	v_fmac_f32_e32 v17, v32, v72
	v_fmac_f32_e32 v15, v32, v139
	s_delay_alu instid0(VALU_DEP_4) | instskip(NEXT) | instid1(VALU_DEP_4)
	v_fmac_f32_e32 v13, v32, v155
	v_dual_fmac_f32 v14, v32, v147 :: v_dual_and_b32 v37, 0xffff0000, v37
	v_dual_fmac_f32 v27, v34, v83 :: v_dual_fmac_f32 v26, v33, v106
	v_fmac_f32_e32 v18, v33, v123
	v_fmac_f32_e32 v17, v33, v125
	;; [unrolled: 1-line block ×23, first 2 shown]
	s_cbranch_scc0 .LBB52_1
; %bb.2:
	v_mbcnt_lo_u32_b32 v5, -1, 0
	v_lshrrev_b32_e32 v29, 5, v0
	s_delay_alu instid0(VALU_DEP_2) | instskip(SKIP_1) | instid1(VALU_DEP_2)
	v_xor_b32_e32 v1, 16, v5
	v_xor_b32_e32 v2, 8, v5
	v_cmp_gt_i32_e32 vcc_lo, 32, v1
	v_cndmask_b32_e32 v1, v5, v1, vcc_lo
	s_delay_alu instid0(VALU_DEP_3) | instskip(SKIP_1) | instid1(VALU_DEP_1)
	v_cmp_gt_i32_e32 vcc_lo, 32, v2
	v_cndmask_b32_e32 v2, v5, v2, vcc_lo
	v_lshlrev_b32_e32 v2, 2, v2
	s_delay_alu instid0(VALU_DEP_4)
	v_lshlrev_b32_e32 v1, 2, v1
	ds_bpermute_b32 v3, v1, v27
	s_waitcnt lgkmcnt(0)
	v_add_f32_e32 v4, v27, v3
	v_xor_b32_e32 v3, 4, v5
	ds_bpermute_b32 v6, v2, v4
	v_cmp_gt_i32_e32 vcc_lo, 32, v3
	s_waitcnt lgkmcnt(0)
	v_dual_cndmask_b32 v3, v5, v3 :: v_dual_add_f32 v6, v4, v6
	s_delay_alu instid0(VALU_DEP_1)
	v_lshlrev_b32_e32 v3, 2, v3
	v_xor_b32_e32 v4, 2, v5
	ds_bpermute_b32 v27, v3, v6
	v_cmp_gt_i32_e32 vcc_lo, 32, v4
	s_waitcnt lgkmcnt(0)
	v_dual_cndmask_b32 v4, v5, v4 :: v_dual_add_f32 v27, v6, v27
	v_xor_b32_e32 v6, 1, v5
	s_delay_alu instid0(VALU_DEP_1) | instskip(NEXT) | instid1(VALU_DEP_3)
	v_cmp_gt_i32_e32 vcc_lo, 32, v6
	v_dual_cndmask_b32 v5, v5, v6 :: v_dual_lshlrev_b32 v4, 2, v4
	ds_bpermute_b32 v28, v4, v27
	v_lshlrev_b32_e32 v6, 2, v5
	v_and_b32_e32 v5, 31, v0
	s_delay_alu instid0(VALU_DEP_1)
	v_cmp_eq_u32_e32 vcc_lo, 0, v5
	v_lshlrev_b32_e32 v5, 2, v29
	s_waitcnt lgkmcnt(0)
	v_add_f32_e32 v27, v27, v28
	ds_bpermute_b32 v28, v6, v27
	s_and_saveexec_b32 s0, vcc_lo
	s_cbranch_execz .LBB52_4
; %bb.3:
	s_waitcnt lgkmcnt(0)
	v_add_f32_e32 v27, v27, v28
	ds_store_b32 v5, v27
.LBB52_4:
	s_or_b32 exec_lo, exec_lo, s0
	ds_bpermute_b32 v27, v1, v26
	s_waitcnt lgkmcnt(0)
	v_add_f32_e32 v26, v26, v27
	ds_bpermute_b32 v27, v2, v26
	s_waitcnt lgkmcnt(0)
	v_add_f32_e32 v26, v26, v27
	ds_bpermute_b32 v27, v3, v26
	s_waitcnt lgkmcnt(0)
	v_add_f32_e32 v26, v26, v27
	ds_bpermute_b32 v27, v4, v26
	s_waitcnt lgkmcnt(0)
	v_add_f32_e32 v26, v26, v27
	ds_bpermute_b32 v27, v6, v26
	s_and_saveexec_b32 s0, vcc_lo
	s_cbranch_execz .LBB52_6
; %bb.5:
	s_waitcnt lgkmcnt(0)
	v_add_f32_e32 v26, v26, v27
	ds_store_b32 v5, v26 offset:16
.LBB52_6:
	s_or_b32 exec_lo, exec_lo, s0
	ds_bpermute_b32 v26, v1, v25
	s_waitcnt lgkmcnt(0)
	v_add_f32_e32 v25, v25, v26
	ds_bpermute_b32 v26, v2, v25
	s_waitcnt lgkmcnt(0)
	v_add_f32_e32 v25, v25, v26
	ds_bpermute_b32 v26, v3, v25
	s_waitcnt lgkmcnt(0)
	v_add_f32_e32 v25, v25, v26
	ds_bpermute_b32 v26, v4, v25
	s_waitcnt lgkmcnt(0)
	v_add_f32_e32 v25, v25, v26
	ds_bpermute_b32 v26, v6, v25
	s_and_saveexec_b32 s0, vcc_lo
	s_cbranch_execz .LBB52_8
; %bb.7:
	s_waitcnt lgkmcnt(0)
	v_add_f32_e32 v25, v25, v26
	ds_store_b32 v5, v25 offset:32
.LBB52_8:
	;; [unrolled: 21-line block ×20, first 2 shown]
	s_or_b32 exec_lo, exec_lo, s0
	s_waitcnt lgkmcnt(0)
	s_barrier
	buffer_gl0_inv
	s_mov_b32 s0, exec_lo
	v_cmpx_eq_u32_e32 0, v0
	s_cbranch_execz .LBB52_46
; %bb.45:
	v_mov_b32_e32 v44, 0
	s_ashr_i32 s3, s2, 31
	ds_load_b128 v[0:3], v44
	ds_load_b128 v[4:7], v44 offset:16
	ds_load_b128 v[8:11], v44 offset:32
	;; [unrolled: 1-line block ×7, first 2 shown]
	s_lshl_b64 s[0:1], s[2:3], 2
	s_delay_alu instid0(SALU_CYCLE_1)
	s_add_u32 s0, s4, s0
	s_addc_u32 s1, s5, s1
	s_waitcnt lgkmcnt(4)
	v_add_f32_e32 v12, 0, v12
	v_add_f32_e32 v0, 0, v0
	s_waitcnt lgkmcnt(2)
	v_add_f32_e32 v20, 0, v20
	v_add_f32_e32 v4, 0, v4
	s_delay_alu instid0(VALU_DEP_3) | instskip(NEXT) | instid1(VALU_DEP_2)
	v_add_f32_e32 v0, v0, v1
	v_dual_add_f32 v1, v4, v5 :: v_dual_add_f32 v8, 0, v8
	ds_load_b128 v[32:35], v44 offset:128
	ds_load_b128 v[36:39], v44 offset:144
	v_add_f32_e32 v5, v12, v13
	v_add_f32_e32 v0, v0, v2
	v_dual_add_f32 v1, v1, v6 :: v_dual_add_f32 v4, v8, v9
	ds_load_b128 v[40:43], v44 offset:160
	v_add_f32_e32 v16, 0, v16
	v_add_f32_e32 v2, v4, v10
	;; [unrolled: 1-line block ×3, first 2 shown]
	s_delay_alu instid0(VALU_DEP_1) | instskip(SKIP_3) | instid1(VALU_DEP_2)
	v_add_f32_e32 v45, v4, v15
	v_add_f32_e32 v9, v20, v21
	v_add_f32_e32 v21, v1, v7
	s_waitcnt lgkmcnt(1)
	v_dual_add_f32 v7, 0, v36 :: v_dual_add_f32 v6, v9, v22
	v_add_f32_e32 v28, 0, v28
	v_add_f32_e32 v22, v2, v11
	s_delay_alu instid0(VALU_DEP_3) | instskip(NEXT) | instid1(VALU_DEP_3)
	v_dual_add_f32 v2, 0, v32 :: v_dual_add_f32 v23, v6, v23
	v_dual_add_f32 v24, 0, v24 :: v_dual_add_f32 v1, v28, v29
	v_dual_add_f32 v28, v7, v37 :: v_dual_mov_b32 v37, 0x2000
	v_add_f32_e32 v20, v0, v3
	s_delay_alu instid0(VALU_DEP_3) | instskip(SKIP_2) | instid1(VALU_DEP_3)
	v_add_f32_e32 v0, v24, v25
	v_add_f32_e32 v6, v2, v33
	;; [unrolled: 1-line block ×4, first 2 shown]
	s_delay_alu instid0(VALU_DEP_1) | instskip(NEXT) | instid1(VALU_DEP_4)
	v_add_f32_e32 v25, v4, v27
	v_add_f32_e32 v27, v6, v34
	s_delay_alu instid0(VALU_DEP_1) | instskip(NEXT) | instid1(VALU_DEP_1)
	v_dual_add_f32 v5, v8, v18 :: v_dual_add_f32 v36, v27, v35
	v_add_f32_e32 v46, v5, v19
	v_add_f32_e32 v5, v1, v30
	ds_load_b128 v[0:3], v44 offset:176
	s_waitcnt lgkmcnt(1)
	v_add_f32_e32 v8, 0, v40
	s_delay_alu instid0(VALU_DEP_1)
	v_dual_add_f32 v26, v5, v31 :: v_dual_add_f32 v29, v8, v41
	ds_load_b128 v[4:7], v44 offset:192
	ds_load_b128 v[8:11], v44 offset:208
	;; [unrolled: 1-line block ×4, first 2 shown]
	s_waitcnt lgkmcnt(4)
	v_add_f32_e32 v0, 0, v0
	s_waitcnt lgkmcnt(3)
	s_delay_alu instid0(VALU_DEP_1)
	v_dual_add_f32 v0, v0, v1 :: v_dual_add_f32 v1, 0, v4
	s_waitcnt lgkmcnt(2)
	v_add_f32_e32 v4, 0, v8
	s_waitcnt lgkmcnt(1)
	v_add_f32_e32 v8, 0, v12
	v_dual_add_f32 v0, v0, v2 :: v_dual_add_f32 v1, v1, v5
	s_waitcnt lgkmcnt(0)
	v_dual_add_f32 v5, 0, v16 :: v_dual_mov_b32 v24, 0x1000
	v_add_f32_e32 v2, v4, v9
	v_add_f32_e32 v4, v8, v13
	s_delay_alu instid0(VALU_DEP_3)
	v_dual_add_f32 v8, v0, v3 :: v_dual_add_f32 v5, v5, v17
	s_clause 0x7
	global_store_b32 v44, v20, s[0:1]
	global_store_b32 v44, v21, s[0:1] offset:1024
	global_store_b32 v44, v22, s[0:1] offset:2048
	;; [unrolled: 1-line block ×3, first 2 shown]
	global_store_b32 v24, v46, s[0:1]
	global_store_b32 v24, v23, s[0:1] offset:1024
	global_store_b32 v24, v25, s[0:1] offset:2048
	;; [unrolled: 1-line block ×3, first 2 shown]
	v_add_f32_e32 v21, v29, v42
	v_add_f32_e32 v6, v1, v6
	;; [unrolled: 1-line block ×5, first 2 shown]
	s_delay_alu instid0(VALU_DEP_4) | instskip(NEXT) | instid1(VALU_DEP_3)
	v_dual_add_f32 v6, v6, v7 :: v_dual_mov_b32 v7, 0x3000
	v_dual_add_f32 v5, v5, v19 :: v_dual_add_f32 v20, v28, v38
	v_add_f32_e32 v9, v9, v11
	s_delay_alu instid0(VALU_DEP_4) | instskip(NEXT) | instid1(VALU_DEP_3)
	v_add_f32_e32 v4, v4, v15
	v_add_f32_e32 v38, v20, v39
	;; [unrolled: 1-line block ×3, first 2 shown]
	ds_load_b128 v[20:23], v44 offset:256
	ds_load_b128 v[0:3], v44 offset:272
	;; [unrolled: 1-line block ×5, first 2 shown]
	s_clause 0x7
	global_store_b32 v37, v36, s[0:1]
	global_store_b32 v37, v38, s[0:1] offset:1024
	global_store_b32 v37, v39, s[0:1] offset:2048
	;; [unrolled: 1-line block ×3, first 2 shown]
	global_store_b32 v7, v6, s[0:1]
	global_store_b32 v7, v9, s[0:1] offset:1024
	global_store_b32 v7, v4, s[0:1] offset:2048
	;; [unrolled: 1-line block ×3, first 2 shown]
	s_waitcnt lgkmcnt(3)
	v_add_f32_e32 v0, 0, v0
	s_waitcnt lgkmcnt(2)
	v_add_f32_e32 v5, 0, v24
	v_add_f32_e32 v10, 0, v20
	s_waitcnt lgkmcnt(1)
	v_add_f32_e32 v6, 0, v28
	s_waitcnt lgkmcnt(0)
	v_dual_add_f32 v7, 0, v32 :: v_dual_add_f32 v0, v0, v1
	v_add_f32_e32 v1, v5, v25
	v_add_f32_e32 v4, v10, v21
	;; [unrolled: 1-line block ×3, first 2 shown]
	s_delay_alu instid0(VALU_DEP_4)
	v_add_f32_e32 v6, v7, v33
	v_add_f32_e32 v0, v0, v2
	;; [unrolled: 1-line block ×5, first 2 shown]
	v_dual_add_f32 v5, v6, v34 :: v_dual_mov_b32 v6, 0x4000
	v_add_f32_e32 v0, v0, v3
	s_delay_alu instid0(VALU_DEP_4)
	v_add_f32_e32 v4, v4, v23
	v_add_f32_e32 v1, v1, v27
	;; [unrolled: 1-line block ×4, first 2 shown]
	v_mov_b32_e32 v5, 0x5000
	s_clause 0x4
	global_store_b32 v6, v4, s[0:1]
	global_store_b32 v6, v0, s[0:1] offset:1024
	global_store_b32 v6, v1, s[0:1] offset:2048
	;; [unrolled: 1-line block ×3, first 2 shown]
	global_store_b32 v5, v3, s[0:1]
.LBB52_46:
	s_nop 0
	s_sendmsg sendmsg(MSG_DEALLOC_VGPRS)
	s_endpgm
	.section	.rodata,"a",@progbits
	.p2align	6, 0x0
	.amdhsa_kernel _Z23fp32_router_gemm_kernelI14__hip_bfloat16Li128ELi21ELi256ELi3072EEvPfPKT_PKf
		.amdhsa_group_segment_fixed_size 336
		.amdhsa_private_segment_fixed_size 0
		.amdhsa_kernarg_size 24
		.amdhsa_user_sgpr_count 15
		.amdhsa_user_sgpr_dispatch_ptr 0
		.amdhsa_user_sgpr_queue_ptr 0
		.amdhsa_user_sgpr_kernarg_segment_ptr 1
		.amdhsa_user_sgpr_dispatch_id 0
		.amdhsa_user_sgpr_private_segment_size 0
		.amdhsa_wavefront_size32 1
		.amdhsa_uses_dynamic_stack 0
		.amdhsa_enable_private_segment 0
		.amdhsa_system_sgpr_workgroup_id_x 1
		.amdhsa_system_sgpr_workgroup_id_y 0
		.amdhsa_system_sgpr_workgroup_id_z 0
		.amdhsa_system_sgpr_workgroup_info 0
		.amdhsa_system_vgpr_workitem_id 0
		.amdhsa_next_free_vgpr 201
		.amdhsa_next_free_sgpr 16
		.amdhsa_reserve_vcc 1
		.amdhsa_float_round_mode_32 0
		.amdhsa_float_round_mode_16_64 0
		.amdhsa_float_denorm_mode_32 3
		.amdhsa_float_denorm_mode_16_64 3
		.amdhsa_dx10_clamp 1
		.amdhsa_ieee_mode 1
		.amdhsa_fp16_overflow 0
		.amdhsa_workgroup_processor_mode 1
		.amdhsa_memory_ordered 1
		.amdhsa_forward_progress 0
		.amdhsa_shared_vgpr_count 0
		.amdhsa_exception_fp_ieee_invalid_op 0
		.amdhsa_exception_fp_denorm_src 0
		.amdhsa_exception_fp_ieee_div_zero 0
		.amdhsa_exception_fp_ieee_overflow 0
		.amdhsa_exception_fp_ieee_underflow 0
		.amdhsa_exception_fp_ieee_inexact 0
		.amdhsa_exception_int_div_zero 0
	.end_amdhsa_kernel
	.section	.text._Z23fp32_router_gemm_kernelI14__hip_bfloat16Li128ELi21ELi256ELi3072EEvPfPKT_PKf,"axG",@progbits,_Z23fp32_router_gemm_kernelI14__hip_bfloat16Li128ELi21ELi256ELi3072EEvPfPKT_PKf,comdat
.Lfunc_end52:
	.size	_Z23fp32_router_gemm_kernelI14__hip_bfloat16Li128ELi21ELi256ELi3072EEvPfPKT_PKf, .Lfunc_end52-_Z23fp32_router_gemm_kernelI14__hip_bfloat16Li128ELi21ELi256ELi3072EEvPfPKT_PKf
                                        ; -- End function
	.section	.AMDGPU.csdata,"",@progbits
; Kernel info:
; codeLenInByte = 5736
; NumSgprs: 18
; NumVgprs: 201
; ScratchSize: 0
; MemoryBound: 0
; FloatMode: 240
; IeeeMode: 1
; LDSByteSize: 336 bytes/workgroup (compile time only)
; SGPRBlocks: 2
; VGPRBlocks: 25
; NumSGPRsForWavesPerEU: 18
; NumVGPRsForWavesPerEU: 201
; Occupancy: 7
; WaveLimiterHint : 1
; COMPUTE_PGM_RSRC2:SCRATCH_EN: 0
; COMPUTE_PGM_RSRC2:USER_SGPR: 15
; COMPUTE_PGM_RSRC2:TRAP_HANDLER: 0
; COMPUTE_PGM_RSRC2:TGID_X_EN: 1
; COMPUTE_PGM_RSRC2:TGID_Y_EN: 0
; COMPUTE_PGM_RSRC2:TGID_Z_EN: 0
; COMPUTE_PGM_RSRC2:TIDIG_COMP_CNT: 0
	.section	.text._Z23fp32_router_gemm_kernelI14__hip_bfloat16Li128ELi22ELi256ELi3072EEvPfPKT_PKf,"axG",@progbits,_Z23fp32_router_gemm_kernelI14__hip_bfloat16Li128ELi22ELi256ELi3072EEvPfPKT_PKf,comdat
	.protected	_Z23fp32_router_gemm_kernelI14__hip_bfloat16Li128ELi22ELi256ELi3072EEvPfPKT_PKf ; -- Begin function _Z23fp32_router_gemm_kernelI14__hip_bfloat16Li128ELi22ELi256ELi3072EEvPfPKT_PKf
	.globl	_Z23fp32_router_gemm_kernelI14__hip_bfloat16Li128ELi22ELi256ELi3072EEvPfPKT_PKf
	.p2align	8
	.type	_Z23fp32_router_gemm_kernelI14__hip_bfloat16Li128ELi22ELi256ELi3072EEvPfPKT_PKf,@function
_Z23fp32_router_gemm_kernelI14__hip_bfloat16Li128ELi22ELi256ELi3072EEvPfPKT_PKf: ; @_Z23fp32_router_gemm_kernelI14__hip_bfloat16Li128ELi22ELi256ELi3072EEvPfPKT_PKf
; %bb.0:
	s_clause 0x1
	s_load_b128 s[4:7], s[0:1], 0x0
	s_load_b64 s[0:1], s[0:1], 0x10
	v_dual_mov_b32 v30, 0 :: v_dual_lshlrev_b32 v31, 3, v0
	s_mul_i32 s8, s15, 0xc00
	v_dual_mov_b32 v29, 0 :: v_dual_mov_b32 v28, 0
	s_ashr_i32 s9, s8, 31
	s_delay_alu instid0(VALU_DEP_2)
	v_or_b32_e32 v32, 0x400, v31
	s_lshl_b64 s[8:9], s[8:9], 2
	v_or_b32_e32 v33, 0x800, v31
	v_dual_mov_b32 v27, 0 :: v_dual_mov_b32 v26, 0
	v_dual_mov_b32 v25, 0 :: v_dual_mov_b32 v24, 0
	;; [unrolled: 1-line block ×9, first 2 shown]
	v_mov_b32_e32 v9, 0
	s_waitcnt lgkmcnt(0)
	s_add_u32 s0, s0, s8
	s_mov_b32 s2, s15
	s_addc_u32 s1, s1, s9
	s_mov_b64 s[8:9], 0
.LBB53_1:                               ; =>This Inner Loop Header: Depth=1
	s_delay_alu instid0(SALU_CYCLE_1)
	s_cmp_eq_u32 s8, 1
	s_cselect_b32 vcc_lo, -1, 0
	s_cmp_eq_u32 s8, 2
	v_cndmask_b32_e32 v1, v31, v32, vcc_lo
	s_cselect_b32 vcc_lo, -1, 0
	s_add_u32 s8, s8, 1
	s_addc_u32 s9, s9, 0
	s_cmp_eq_u32 s8, 3
	v_cndmask_b32_e32 v1, v1, v33, vcc_lo
	s_delay_alu instid0(VALU_DEP_1)
	v_lshlrev_b32_e32 v5, 1, v1
	v_lshlrev_b32_e32 v36, 2, v1
	global_load_b128 v[1:4], v5, s[6:7]
	v_add_co_u32 v34, s3, s6, v5
	s_clause 0x1
	global_load_b128 v[5:8], v36, s[0:1]
	global_load_b128 v[36:39], v36, s[0:1] offset:16
	v_add_co_ci_u32_e64 v35, null, s7, 0, s3
	v_add_co_u32 v40, vcc_lo, 0x1000, v34
	s_delay_alu instid0(VALU_DEP_2)
	v_add_co_ci_u32_e32 v41, vcc_lo, 0, v35, vcc_lo
	v_add_co_u32 v44, vcc_lo, 0x3000, v34
	v_add_co_ci_u32_e32 v45, vcc_lo, 0, v35, vcc_lo
	v_add_co_u32 v48, vcc_lo, 0x4000, v34
	;; [unrolled: 2-line block ×17, first 2 shown]
	v_add_co_ci_u32_e32 v109, vcc_lo, 0, v35, vcc_lo
	s_clause 0x11
	global_load_b128 v[40:43], v[40:41], off offset:2048
	global_load_b128 v[44:47], v[44:45], off
	global_load_b128 v[48:51], v[48:49], off offset:2048
	global_load_b128 v[52:55], v[52:53], off
	;; [unrolled: 2-line block ×9, first 2 shown]
	v_add_co_u32 v112, vcc_lo, 0x1c000, v34
	v_add_co_ci_u32_e32 v113, vcc_lo, 0, v35, vcc_lo
	v_add_co_u32 v116, vcc_lo, 0x1e000, v34
	v_add_co_ci_u32_e32 v117, vcc_lo, 0, v35, vcc_lo
	;; [unrolled: 2-line block ×3, first 2 shown]
	s_waitcnt vmcnt(20)
	v_lshlrev_b32_e32 v114, 16, v1
	s_waitcnt vmcnt(19)
	s_delay_alu instid0(VALU_DEP_1)
	v_dual_fmac_f32 v30, v5, v114 :: v_dual_and_b32 v1, 0xffff0000, v1
	s_clause 0x2
	global_load_b128 v[112:115], v[112:113], off offset:2048
	global_load_b128 v[116:119], v[116:117], off
	global_load_b128 v[120:123], v[34:35], off offset:2048
	v_dual_fmac_f32 v30, v6, v1 :: v_dual_lshlrev_b32 v1, 16, v2
	s_waitcnt vmcnt(20)
	s_delay_alu instid0(VALU_DEP_1)
	v_dual_fmac_f32 v30, v7, v1 :: v_dual_lshlrev_b32 v1, 16, v40
	s_waitcnt vmcnt(19)
	v_lshlrev_b32_e32 v34, 16, v46
	v_and_b32_e32 v35, 0xffff0000, v46
	s_waitcnt vmcnt(17)
	v_dual_fmac_f32 v29, v5, v1 :: v_dual_lshlrev_b32 v46, 16, v54
	v_lshlrev_b32_e32 v1, 16, v44
	s_delay_alu instid0(VALU_DEP_1) | instskip(NEXT) | instid1(VALU_DEP_1)
	v_dual_fmac_f32 v28, v5, v1 :: v_dual_lshlrev_b32 v1, 16, v48
	v_fmac_f32_e32 v27, v5, v1
	v_lshlrev_b32_e32 v1, 16, v52
	s_waitcnt vmcnt(16)
	s_delay_alu instid0(VALU_DEP_1) | instskip(NEXT) | instid1(VALU_DEP_1)
	v_dual_fmac_f32 v26, v5, v1 :: v_dual_lshlrev_b32 v1, 16, v56
	v_fmac_f32_e32 v25, v5, v1
	s_waitcnt vmcnt(15)
	v_lshlrev_b32_e32 v1, 16, v60
	s_waitcnt vmcnt(14)
	s_delay_alu instid0(VALU_DEP_1) | instskip(NEXT) | instid1(VALU_DEP_1)
	v_dual_fmac_f32 v24, v5, v1 :: v_dual_lshlrev_b32 v1, 16, v64
	v_fmac_f32_e32 v23, v5, v1
	s_waitcnt vmcnt(13)
	;; [unrolled: 6-line block ×8, first 2 shown]
	v_lshlrev_b32_e32 v1, 16, v116
	s_waitcnt vmcnt(0)
	s_delay_alu instid0(VALU_DEP_1) | instskip(NEXT) | instid1(VALU_DEP_1)
	v_dual_fmac_f32 v10, v5, v1 :: v_dual_lshlrev_b32 v1, 16, v120
	v_fmac_f32_e32 v9, v5, v1
	v_and_b32_e32 v1, 0xffff0000, v2
	v_and_b32_e32 v2, 0xffff0000, v3
	s_delay_alu instid0(VALU_DEP_2) | instskip(SKIP_1) | instid1(VALU_DEP_1)
	v_dual_fmac_f32 v30, v8, v1 :: v_dual_lshlrev_b32 v5, 16, v42
	v_and_b32_e32 v1, 0xffff0000, v40
	v_dual_fmac_f32 v29, v6, v1 :: v_dual_lshlrev_b32 v40, 16, v47
	v_and_b32_e32 v1, 0xffff0000, v44
	v_lshlrev_b32_e32 v44, 16, v51
	s_delay_alu instid0(VALU_DEP_2) | instskip(NEXT) | instid1(VALU_DEP_1)
	v_dual_fmac_f32 v28, v6, v1 :: v_dual_and_b32 v1, 0xffff0000, v48
	v_dual_fmac_f32 v27, v6, v1 :: v_dual_lshlrev_b32 v48, 16, v55
	v_and_b32_e32 v1, 0xffff0000, v52
	v_lshlrev_b32_e32 v52, 16, v59
	s_delay_alu instid0(VALU_DEP_2) | instskip(NEXT) | instid1(VALU_DEP_1)
	v_dual_fmac_f32 v26, v6, v1 :: v_dual_and_b32 v1, 0xffff0000, v56
	;; [unrolled: 5-line block ×10, first 2 shown]
	v_fmac_f32_e32 v9, v6, v1
	v_lshlrev_b32_e32 v1, 16, v41
	v_and_b32_e32 v6, 0xffff0000, v42
	s_delay_alu instid0(VALU_DEP_2) | instskip(SKIP_1) | instid1(VALU_DEP_1)
	v_dual_fmac_f32 v29, v7, v1 :: v_dual_lshlrev_b32 v42, 16, v50
	v_lshlrev_b32_e32 v1, 16, v45
	v_fmac_f32_e32 v28, v7, v1
	v_lshlrev_b32_e32 v1, 16, v49
	s_delay_alu instid0(VALU_DEP_1) | instskip(SKIP_1) | instid1(VALU_DEP_1)
	v_fmac_f32_e32 v27, v7, v1
	v_lshlrev_b32_e32 v1, 16, v53
	v_fmac_f32_e32 v26, v7, v1
	v_lshlrev_b32_e32 v1, 16, v57
	s_delay_alu instid0(VALU_DEP_1) | instskip(SKIP_1) | instid1(VALU_DEP_1)
	v_fmac_f32_e32 v25, v7, v1
	;; [unrolled: 5-line block ×9, first 2 shown]
	v_lshlrev_b32_e32 v1, 16, v117
	v_fmac_f32_e32 v10, v7, v1
	v_lshlrev_b32_e32 v1, 16, v121
	s_delay_alu instid0(VALU_DEP_1) | instskip(SKIP_4) | instid1(VALU_DEP_4)
	v_fmac_f32_e32 v9, v7, v1
	v_and_b32_e32 v1, 0xffff0000, v41
	v_lshlrev_b32_e32 v7, 16, v43
	v_and_b32_e32 v41, 0xffff0000, v47
	v_and_b32_e32 v47, 0xffff0000, v54
	v_dual_fmac_f32 v29, v8, v1 :: v_dual_lshlrev_b32 v54, 16, v62
	v_and_b32_e32 v1, 0xffff0000, v45
	v_and_b32_e32 v45, 0xffff0000, v51
	;; [unrolled: 1-line block ×3, first 2 shown]
	s_delay_alu instid0(VALU_DEP_4) | instskip(NEXT) | instid1(VALU_DEP_4)
	v_fmac_f32_e32 v29, v36, v5
	v_fmac_f32_e32 v28, v8, v1
	v_and_b32_e32 v1, 0xffff0000, v49
	v_and_b32_e32 v49, 0xffff0000, v55
	;; [unrolled: 1-line block ×3, first 2 shown]
	v_lshlrev_b32_e32 v62, 16, v70
	v_fmac_f32_e32 v29, v37, v6
	v_fmac_f32_e32 v27, v8, v1
	v_and_b32_e32 v1, 0xffff0000, v53
	v_and_b32_e32 v53, 0xffff0000, v59
	;; [unrolled: 1-line block ×3, first 2 shown]
	v_dual_fmac_f32 v28, v36, v34 :: v_dual_fmac_f32 v29, v38, v7
	s_delay_alu instid0(VALU_DEP_4) | instskip(SKIP_3) | instid1(VALU_DEP_3)
	v_fmac_f32_e32 v26, v8, v1
	v_and_b32_e32 v1, 0xffff0000, v57
	v_and_b32_e32 v57, 0xffff0000, v63
	;; [unrolled: 1-line block ×3, first 2 shown]
	v_dual_fmac_f32 v25, v8, v1 :: v_dual_lshlrev_b32 v70, 16, v78
	v_and_b32_e32 v1, 0xffff0000, v61
	v_and_b32_e32 v61, 0xffff0000, v67
	s_delay_alu instid0(VALU_DEP_2)
	v_dual_fmac_f32 v24, v8, v1 :: v_dual_and_b32 v67, 0xffff0000, v74
	v_and_b32_e32 v1, 0xffff0000, v65
	v_and_b32_e32 v65, 0xffff0000, v71
	;; [unrolled: 1-line block ×3, first 2 shown]
	v_lshlrev_b32_e32 v78, 16, v86
	v_fmac_f32_e32 v24, v36, v54
	v_fmac_f32_e32 v23, v8, v1
	v_and_b32_e32 v1, 0xffff0000, v69
	v_and_b32_e32 v69, 0xffff0000, v75
	s_delay_alu instid0(VALU_DEP_4) | instskip(NEXT) | instid1(VALU_DEP_3)
	v_dual_fmac_f32 v24, v37, v55 :: v_dual_and_b32 v75, 0xffff0000, v82
	v_fmac_f32_e32 v22, v8, v1
	s_delay_alu instid0(VALU_DEP_2) | instskip(NEXT) | instid1(VALU_DEP_2)
	v_dual_fmac_f32 v24, v38, v56 :: v_dual_and_b32 v1, 0xffff0000, v73
	v_dual_fmac_f32 v22, v36, v62 :: v_dual_and_b32 v73, 0xffff0000, v79
	s_delay_alu instid0(VALU_DEP_2) | instskip(SKIP_1) | instid1(VALU_DEP_4)
	v_fmac_f32_e32 v21, v8, v1
	v_and_b32_e32 v1, 0xffff0000, v77
	v_dual_fmac_f32 v24, v39, v57 :: v_dual_and_b32 v77, 0xffff0000, v83
	s_delay_alu instid0(VALU_DEP_4) | instskip(NEXT) | instid1(VALU_DEP_3)
	v_fmac_f32_e32 v22, v37, v63
	v_fmac_f32_e32 v20, v8, v1
	v_and_b32_e32 v1, 0xffff0000, v81
	v_and_b32_e32 v81, 0xffff0000, v87
	s_delay_alu instid0(VALU_DEP_4) | instskip(SKIP_1) | instid1(VALU_DEP_4)
	v_dual_fmac_f32 v22, v38, v64 :: v_dual_and_b32 v87, 0xffff0000, v94
	v_and_b32_e32 v79, 0xffff0000, v86
	v_fmac_f32_e32 v19, v8, v1
	v_and_b32_e32 v1, 0xffff0000, v85
	v_lshlrev_b32_e32 v86, 16, v94
	v_lshlrev_b32_e32 v94, 16, v102
	v_fmac_f32_e32 v20, v36, v70
	s_delay_alu instid0(VALU_DEP_4) | instskip(NEXT) | instid1(VALU_DEP_1)
	v_fmac_f32_e32 v18, v8, v1
	v_dual_fmac_f32 v18, v36, v78 :: v_dual_and_b32 v1, 0xffff0000, v89
	s_delay_alu instid0(VALU_DEP_1) | instskip(SKIP_2) | instid1(VALU_DEP_2)
	v_fmac_f32_e32 v17, v8, v1
	v_and_b32_e32 v1, 0xffff0000, v93
	v_and_b32_e32 v93, 0xffff0000, v99
	v_dual_fmac_f32 v16, v8, v1 :: v_dual_and_b32 v99, 0xffff0000, v106
	v_and_b32_e32 v1, 0xffff0000, v97
	v_and_b32_e32 v97, 0xffff0000, v103
	;; [unrolled: 1-line block ×3, first 2 shown]
	s_delay_alu instid0(VALU_DEP_4) | instskip(NEXT) | instid1(VALU_DEP_4)
	v_fmac_f32_e32 v16, v36, v86
	v_fmac_f32_e32 v15, v8, v1
	v_and_b32_e32 v1, 0xffff0000, v101
	v_and_b32_e32 v101, 0xffff0000, v107
	s_delay_alu instid0(VALU_DEP_2) | instskip(SKIP_4) | instid1(VALU_DEP_4)
	v_dual_fmac_f32 v14, v8, v1 :: v_dual_and_b32 v107, 0xffff0000, v114
	v_and_b32_e32 v1, 0xffff0000, v105
	v_and_b32_e32 v105, 0xffff0000, v111
	;; [unrolled: 1-line block ×4, first 2 shown]
	v_dual_fmac_f32 v13, v8, v1 :: v_dual_lshlrev_b32 v102, 16, v110
	v_and_b32_e32 v1, 0xffff0000, v109
	v_lshlrev_b32_e32 v110, 16, v118
	v_fmac_f32_e32 v27, v36, v42
	v_fmac_f32_e32 v14, v36, v94
	s_delay_alu instid0(VALU_DEP_4) | instskip(SKIP_2) | instid1(VALU_DEP_4)
	v_dual_fmac_f32 v12, v8, v1 :: v_dual_and_b32 v111, 0xffff0000, v118
	v_and_b32_e32 v1, 0xffff0000, v113
	v_and_b32_e32 v113, 0xffff0000, v119
	v_fmac_f32_e32 v14, v37, v95
	s_delay_alu instid0(VALU_DEP_4) | instskip(NEXT) | instid1(VALU_DEP_4)
	v_dual_fmac_f32 v12, v36, v102 :: v_dual_and_b32 v109, 0xffff0000, v115
	v_fmac_f32_e32 v11, v8, v1
	v_and_b32_e32 v1, 0xffff0000, v117
	v_and_b32_e32 v115, 0xffff0000, v122
	;; [unrolled: 1-line block ×3, first 2 shown]
	v_fmac_f32_e32 v12, v37, v103
	s_delay_alu instid0(VALU_DEP_4) | instskip(NEXT) | instid1(VALU_DEP_1)
	v_fmac_f32_e32 v10, v8, v1
	v_dual_fmac_f32 v10, v36, v110 :: v_dual_and_b32 v1, 0xffff0000, v121
	s_delay_alu instid0(VALU_DEP_1) | instskip(SKIP_4) | instid1(VALU_DEP_4)
	v_dual_fmac_f32 v9, v8, v1 :: v_dual_and_b32 v8, 0xffff0000, v43
	v_and_b32_e32 v43, 0xffff0000, v50
	v_lshlrev_b32_e32 v1, 16, v3
	v_lshlrev_b32_e32 v50, 16, v58
	;; [unrolled: 1-line block ×3, first 2 shown]
	v_dual_fmac_f32 v27, v37, v43 :: v_dual_lshlrev_b32 v66, 16, v74
	v_fmac_f32_e32 v26, v36, v46
	v_fmac_f32_e32 v30, v36, v1
	s_delay_alu instid0(VALU_DEP_4) | instskip(SKIP_1) | instid1(VALU_DEP_4)
	v_dual_fmac_f32 v28, v37, v35 :: v_dual_fmac_f32 v23, v36, v58
	v_fmac_f32_e32 v14, v38, v96
	v_fmac_f32_e32 v26, v37, v47
	v_lshlrev_b32_e32 v74, 16, v82
	s_delay_alu instid0(VALU_DEP_4) | instskip(SKIP_1) | instid1(VALU_DEP_4)
	v_dual_fmac_f32 v28, v38, v40 :: v_dual_fmac_f32 v21, v36, v66
	v_fmac_f32_e32 v10, v37, v111
	v_fmac_f32_e32 v26, v38, v48
	v_fmac_f32_e32 v12, v38, v104
	s_delay_alu instid0(VALU_DEP_4)
	v_fmac_f32_e32 v28, v39, v41
	v_fmac_f32_e32 v22, v39, v65
	;; [unrolled: 1-line block ×7, first 2 shown]
	v_lshlrev_b32_e32 v82, 16, v90
	s_delay_alu instid0(VALU_DEP_4) | instskip(SKIP_1) | instid1(VALU_DEP_4)
	v_dual_fmac_f32 v19, v36, v74 :: v_dual_fmac_f32 v20, v38, v72
	v_fmac_f32_e32 v18, v38, v80
	v_fmac_f32_e32 v16, v38, v88
	v_fmac_f32_e32 v10, v38, v112
	v_dual_fmac_f32 v12, v39, v105 :: v_dual_and_b32 v85, 0xffff0000, v91
	v_dual_fmac_f32 v20, v39, v73 :: v_dual_and_b32 v91, 0xffff0000, v98
	s_delay_alu instid0(VALU_DEP_3)
	v_dual_fmac_f32 v10, v39, v113 :: v_dual_and_b32 v83, 0xffff0000, v90
	v_fmac_f32_e32 v18, v39, v81
	v_lshlrev_b32_e32 v90, 16, v98
	v_lshlrev_b32_e32 v98, 16, v106
	v_lshlrev_b32_e32 v106, 16, v114
	v_lshlrev_b32_e32 v114, 16, v122
	v_fmac_f32_e32 v25, v36, v50
	v_fmac_f32_e32 v17, v36, v82
	;; [unrolled: 1-line block ×6, first 2 shown]
	v_dual_fmac_f32 v30, v37, v2 :: v_dual_lshlrev_b32 v3, 16, v4
	v_fmac_f32_e32 v25, v37, v51
	v_fmac_f32_e32 v23, v37, v59
	;; [unrolled: 1-line block ×8, first 2 shown]
	v_dual_fmac_f32 v9, v37, v115 :: v_dual_and_b32 v4, 0xffff0000, v4
	v_fmac_f32_e32 v30, v38, v3
	v_fmac_f32_e32 v27, v38, v44
	;; [unrolled: 1-line block ×24, first 2 shown]
	s_cbranch_scc0 .LBB53_1
; %bb.2:
	v_mbcnt_lo_u32_b32 v5, -1, 0
	s_delay_alu instid0(VALU_DEP_1) | instskip(SKIP_1) | instid1(VALU_DEP_2)
	v_xor_b32_e32 v1, 16, v5
	v_xor_b32_e32 v2, 8, v5
	v_cmp_gt_i32_e32 vcc_lo, 32, v1
	v_cndmask_b32_e32 v1, v5, v1, vcc_lo
	s_delay_alu instid0(VALU_DEP_3) | instskip(SKIP_1) | instid1(VALU_DEP_1)
	v_cmp_gt_i32_e32 vcc_lo, 32, v2
	v_cndmask_b32_e32 v2, v5, v2, vcc_lo
	v_lshlrev_b32_e32 v2, 2, v2
	s_delay_alu instid0(VALU_DEP_4)
	v_lshlrev_b32_e32 v1, 2, v1
	ds_bpermute_b32 v3, v1, v30
	s_waitcnt lgkmcnt(0)
	v_add_f32_e32 v4, v30, v3
	v_xor_b32_e32 v3, 4, v5
	v_lshrrev_b32_e32 v30, 5, v0
	ds_bpermute_b32 v6, v2, v4
	v_cmp_gt_i32_e32 vcc_lo, 32, v3
	s_waitcnt lgkmcnt(0)
	v_dual_cndmask_b32 v3, v5, v3 :: v_dual_add_f32 v6, v4, v6
	s_delay_alu instid0(VALU_DEP_1)
	v_lshlrev_b32_e32 v3, 2, v3
	v_xor_b32_e32 v4, 2, v5
	ds_bpermute_b32 v7, v3, v6
	v_cmp_gt_i32_e32 vcc_lo, 32, v4
	s_waitcnt lgkmcnt(0)
	v_dual_cndmask_b32 v4, v5, v4 :: v_dual_add_f32 v7, v6, v7
	v_xor_b32_e32 v6, 1, v5
	s_delay_alu instid0(VALU_DEP_1) | instskip(NEXT) | instid1(VALU_DEP_3)
	v_cmp_gt_i32_e32 vcc_lo, 32, v6
	v_dual_cndmask_b32 v5, v5, v6 :: v_dual_lshlrev_b32 v4, 2, v4
	ds_bpermute_b32 v8, v4, v7
	v_lshlrev_b32_e32 v6, 2, v5
	v_and_b32_e32 v5, 31, v0
	s_delay_alu instid0(VALU_DEP_1)
	v_cmp_eq_u32_e32 vcc_lo, 0, v5
	v_lshlrev_b32_e32 v5, 2, v30
	s_waitcnt lgkmcnt(0)
	v_add_f32_e32 v7, v7, v8
	ds_bpermute_b32 v8, v6, v7
	s_and_saveexec_b32 s0, vcc_lo
	s_cbranch_execz .LBB53_4
; %bb.3:
	s_waitcnt lgkmcnt(0)
	v_add_f32_e32 v7, v7, v8
	ds_store_b32 v5, v7
.LBB53_4:
	s_or_b32 exec_lo, exec_lo, s0
	ds_bpermute_b32 v7, v1, v29
	s_waitcnt lgkmcnt(0)
	v_add_f32_e32 v7, v29, v7
	ds_bpermute_b32 v8, v2, v7
	s_waitcnt lgkmcnt(0)
	v_add_f32_e32 v7, v7, v8
	ds_bpermute_b32 v8, v3, v7
	s_waitcnt lgkmcnt(0)
	v_add_f32_e32 v7, v7, v8
	ds_bpermute_b32 v8, v4, v7
	s_waitcnt lgkmcnt(0)
	v_add_f32_e32 v7, v7, v8
	ds_bpermute_b32 v8, v6, v7
	s_and_saveexec_b32 s0, vcc_lo
	s_cbranch_execz .LBB53_6
; %bb.5:
	s_waitcnt lgkmcnt(0)
	v_add_f32_e32 v7, v7, v8
	ds_store_b32 v5, v7 offset:16
.LBB53_6:
	s_or_b32 exec_lo, exec_lo, s0
	ds_bpermute_b32 v7, v1, v28
	s_waitcnt lgkmcnt(0)
	v_add_f32_e32 v7, v28, v7
	ds_bpermute_b32 v8, v2, v7
	s_waitcnt lgkmcnt(0)
	v_add_f32_e32 v7, v7, v8
	ds_bpermute_b32 v8, v3, v7
	s_waitcnt lgkmcnt(0)
	v_add_f32_e32 v7, v7, v8
	ds_bpermute_b32 v8, v4, v7
	s_waitcnt lgkmcnt(0)
	v_add_f32_e32 v7, v7, v8
	ds_bpermute_b32 v8, v6, v7
	s_and_saveexec_b32 s0, vcc_lo
	s_cbranch_execz .LBB53_8
; %bb.7:
	s_waitcnt lgkmcnt(0)
	v_add_f32_e32 v7, v7, v8
	ds_store_b32 v5, v7 offset:32
.LBB53_8:
	;; [unrolled: 21-line block ×21, first 2 shown]
	s_or_b32 exec_lo, exec_lo, s0
	s_waitcnt lgkmcnt(0)
	s_barrier
	buffer_gl0_inv
	s_mov_b32 s0, exec_lo
	v_cmpx_eq_u32_e32 0, v0
	s_cbranch_execz .LBB53_48
; %bb.47:
	v_mov_b32_e32 v48, 0
	s_ashr_i32 s3, s2, 31
	ds_load_b128 v[0:3], v48
	ds_load_b128 v[4:7], v48 offset:16
	ds_load_b128 v[8:11], v48 offset:32
	;; [unrolled: 1-line block ×7, first 2 shown]
	s_lshl_b64 s[0:1], s[2:3], 2
	s_delay_alu instid0(SALU_CYCLE_1)
	s_add_u32 s0, s4, s0
	s_addc_u32 s1, s5, s1
	s_waitcnt lgkmcnt(4)
	v_add_f32_e32 v12, 0, v12
	v_add_f32_e32 v0, 0, v0
	s_waitcnt lgkmcnt(2)
	v_add_f32_e32 v20, 0, v20
	v_add_f32_e32 v4, 0, v4
	;; [unrolled: 3-line block ×3, first 2 shown]
	s_delay_alu instid0(VALU_DEP_3)
	v_dual_add_f32 v1, v4, v5 :: v_dual_add_f32 v8, 0, v8
	ds_load_b128 v[32:35], v48 offset:128
	ds_load_b128 v[36:39], v48 offset:144
	;; [unrolled: 1-line block ×4, first 2 shown]
	v_add_f32_e32 v5, v12, v13
	v_add_f32_e32 v0, v0, v2
	v_dual_add_f32 v1, v1, v6 :: v_dual_add_f32 v16, 0, v16
	v_add_f32_e32 v4, v8, v9
	s_delay_alu instid0(VALU_DEP_2) | instskip(NEXT) | instid1(VALU_DEP_2)
	v_add_f32_e32 v8, v16, v17
	v_add_f32_e32 v2, v4, v10
	;; [unrolled: 1-line block ×6, first 2 shown]
	s_waitcnt lgkmcnt(3)
	v_add_f32_e32 v3, 0, v32
	s_delay_alu instid0(VALU_DEP_2) | instskip(SKIP_4) | instid1(VALU_DEP_2)
	v_add_f32_e32 v19, v5, v19
	v_add_f32_e32 v9, v20, v21
	v_dual_mov_b32 v21, 0x1000 :: v_dual_add_f32 v24, 0, v24
	v_add_f32_e32 v1, v28, v29
	s_waitcnt lgkmcnt(2)
	v_dual_add_f32 v5, 0, v36 :: v_dual_add_f32 v0, v24, v25
	s_delay_alu instid0(VALU_DEP_2) | instskip(NEXT) | instid1(VALU_DEP_2)
	v_add_f32_e32 v1, v1, v30
	v_add_f32_e32 v0, v0, v26
	s_delay_alu instid0(VALU_DEP_3) | instskip(SKIP_3) | instid1(VALU_DEP_2)
	v_dual_add_f32 v26, v5, v37 :: v_dual_mov_b32 v37, 0x2000
	v_add_f32_e32 v18, v2, v11
	v_add_f32_e32 v2, v9, v22
	;; [unrolled: 1-line block ×7, first 2 shown]
	ds_load_b128 v[0:3], v48 offset:192
	s_waitcnt lgkmcnt(2)
	v_add_f32_e32 v27, 0, v40
	v_add_f32_e32 v25, v4, v34
	ds_load_b128 v[4:7], v48 offset:208
	ds_load_b128 v[8:11], v48 offset:224
	;; [unrolled: 1-line block ×3, first 2 shown]
	s_waitcnt lgkmcnt(4)
	v_add_f32_e32 v28, 0, v44
	s_clause 0x7
	global_store_b32 v48, v16, s[0:1]
	global_store_b32 v48, v17, s[0:1] offset:1024
	global_store_b32 v48, v18, s[0:1] offset:2048
	;; [unrolled: 1-line block ×3, first 2 shown]
	global_store_b32 v21, v19, s[0:1]
	global_store_b32 v21, v22, s[0:1] offset:1024
	global_store_b32 v21, v23, s[0:1] offset:2048
	;; [unrolled: 1-line block ×3, first 2 shown]
	v_dual_add_f32 v20, v27, v41 :: v_dual_add_f32 v21, v26, v38
	ds_load_b128 v[16:19], v48 offset:256
	v_add_f32_e32 v22, v28, v45
	v_add_f32_e32 v36, v25, v35
	;; [unrolled: 1-line block ×4, first 2 shown]
	s_waitcnt lgkmcnt(4)
	s_delay_alu instid0(VALU_DEP_2)
	v_dual_add_f32 v39, v20, v43 :: v_dual_add_f32 v0, 0, v0
	s_waitcnt lgkmcnt(3)
	v_add_f32_e32 v4, 0, v4
	s_waitcnt lgkmcnt(2)
	v_add_f32_e32 v8, 0, v8
	v_dual_add_f32 v0, v0, v1 :: v_dual_add_f32 v1, v22, v46
	s_delay_alu instid0(VALU_DEP_1) | instskip(SKIP_1) | instid1(VALU_DEP_2)
	v_add_f32_e32 v0, v0, v2
	s_waitcnt lgkmcnt(1)
	v_dual_add_f32 v40, v1, v47 :: v_dual_add_f32 v1, 0, v12
	v_add_f32_e32 v2, v4, v5
	v_add_f32_e32 v4, v8, v9
	v_dual_add_f32 v5, v0, v3 :: v_dual_mov_b32 v8, 0x3000
	s_delay_alu instid0(VALU_DEP_3)
	v_dual_add_f32 v9, v1, v13 :: v_dual_add_f32 v6, v2, v6
	ds_load_b128 v[0:3], v48 offset:272
	ds_load_b128 v[20:23], v48 offset:288
	;; [unrolled: 1-line block ×5, first 2 shown]
	v_add_f32_e32 v4, v4, v10
	s_waitcnt lgkmcnt(5)
	v_dual_add_f32 v9, v9, v14 :: v_dual_add_f32 v10, 0, v16
	v_add_f32_e32 v6, v6, v7
	s_delay_alu instid0(VALU_DEP_3) | instskip(NEXT) | instid1(VALU_DEP_3)
	v_add_f32_e32 v4, v4, v11
	v_add_f32_e32 v7, v9, v15
	s_clause 0x7
	global_store_b32 v37, v36, s[0:1]
	global_store_b32 v37, v38, s[0:1] offset:1024
	global_store_b32 v37, v39, s[0:1] offset:2048
	;; [unrolled: 1-line block ×3, first 2 shown]
	global_store_b32 v8, v5, s[0:1]
	global_store_b32 v8, v6, s[0:1] offset:1024
	global_store_b32 v8, v4, s[0:1] offset:2048
	;; [unrolled: 1-line block ×3, first 2 shown]
	v_dual_add_f32 v10, v10, v17 :: v_dual_mov_b32 v5, 0x4000
	s_waitcnt lgkmcnt(3)
	s_delay_alu instid0(VALU_DEP_1)
	v_dual_add_f32 v9, v10, v18 :: v_dual_add_f32 v6, 0, v20
	v_add_f32_e32 v0, 0, v0
	s_waitcnt lgkmcnt(2)
	v_add_f32_e32 v7, 0, v24
	s_waitcnt lgkmcnt(1)
	v_add_f32_e32 v8, 0, v28
	v_add_f32_e32 v4, v9, v19
	;; [unrolled: 1-line block ×3, first 2 shown]
	s_waitcnt lgkmcnt(0)
	v_dual_add_f32 v0, v0, v1 :: v_dual_add_f32 v1, 0, v32
	v_add_f32_e32 v7, v7, v25
	v_add_f32_e32 v8, v8, v29
	s_delay_alu instid0(VALU_DEP_3) | instskip(SKIP_1) | instid1(VALU_DEP_4)
	v_dual_add_f32 v0, v0, v2 :: v_dual_add_f32 v1, v1, v33
	v_add_f32_e32 v2, v6, v22
	v_add_f32_e32 v6, v7, v26
	s_delay_alu instid0(VALU_DEP_4) | instskip(NEXT) | instid1(VALU_DEP_4)
	v_add_f32_e32 v7, v8, v30
	v_dual_add_f32 v0, v0, v3 :: v_dual_add_f32 v1, v1, v34
	s_delay_alu instid0(VALU_DEP_4) | instskip(NEXT) | instid1(VALU_DEP_4)
	v_add_f32_e32 v2, v2, v23
	v_add_f32_e32 v3, v6, v27
	s_delay_alu instid0(VALU_DEP_4) | instskip(NEXT) | instid1(VALU_DEP_4)
	v_dual_add_f32 v6, v7, v31 :: v_dual_mov_b32 v7, 0x5000
	v_add_f32_e32 v1, v1, v35
	s_clause 0x5
	global_store_b32 v5, v4, s[0:1]
	global_store_b32 v5, v0, s[0:1] offset:1024
	global_store_b32 v5, v2, s[0:1] offset:2048
	;; [unrolled: 1-line block ×3, first 2 shown]
	global_store_b32 v7, v6, s[0:1]
	global_store_b32 v7, v1, s[0:1] offset:1024
.LBB53_48:
	s_nop 0
	s_sendmsg sendmsg(MSG_DEALLOC_VGPRS)
	s_endpgm
	.section	.rodata,"a",@progbits
	.p2align	6, 0x0
	.amdhsa_kernel _Z23fp32_router_gemm_kernelI14__hip_bfloat16Li128ELi22ELi256ELi3072EEvPfPKT_PKf
		.amdhsa_group_segment_fixed_size 352
		.amdhsa_private_segment_fixed_size 0
		.amdhsa_kernarg_size 24
		.amdhsa_user_sgpr_count 15
		.amdhsa_user_sgpr_dispatch_ptr 0
		.amdhsa_user_sgpr_queue_ptr 0
		.amdhsa_user_sgpr_kernarg_segment_ptr 1
		.amdhsa_user_sgpr_dispatch_id 0
		.amdhsa_user_sgpr_private_segment_size 0
		.amdhsa_wavefront_size32 1
		.amdhsa_uses_dynamic_stack 0
		.amdhsa_enable_private_segment 0
		.amdhsa_system_sgpr_workgroup_id_x 1
		.amdhsa_system_sgpr_workgroup_id_y 0
		.amdhsa_system_sgpr_workgroup_id_z 0
		.amdhsa_system_sgpr_workgroup_info 0
		.amdhsa_system_vgpr_workitem_id 0
		.amdhsa_next_free_vgpr 124
		.amdhsa_next_free_sgpr 16
		.amdhsa_reserve_vcc 1
		.amdhsa_float_round_mode_32 0
		.amdhsa_float_round_mode_16_64 0
		.amdhsa_float_denorm_mode_32 3
		.amdhsa_float_denorm_mode_16_64 3
		.amdhsa_dx10_clamp 1
		.amdhsa_ieee_mode 1
		.amdhsa_fp16_overflow 0
		.amdhsa_workgroup_processor_mode 1
		.amdhsa_memory_ordered 1
		.amdhsa_forward_progress 0
		.amdhsa_shared_vgpr_count 0
		.amdhsa_exception_fp_ieee_invalid_op 0
		.amdhsa_exception_fp_denorm_src 0
		.amdhsa_exception_fp_ieee_div_zero 0
		.amdhsa_exception_fp_ieee_overflow 0
		.amdhsa_exception_fp_ieee_underflow 0
		.amdhsa_exception_fp_ieee_inexact 0
		.amdhsa_exception_int_div_zero 0
	.end_amdhsa_kernel
	.section	.text._Z23fp32_router_gemm_kernelI14__hip_bfloat16Li128ELi22ELi256ELi3072EEvPfPKT_PKf,"axG",@progbits,_Z23fp32_router_gemm_kernelI14__hip_bfloat16Li128ELi22ELi256ELi3072EEvPfPKT_PKf,comdat
.Lfunc_end53:
	.size	_Z23fp32_router_gemm_kernelI14__hip_bfloat16Li128ELi22ELi256ELi3072EEvPfPKT_PKf, .Lfunc_end53-_Z23fp32_router_gemm_kernelI14__hip_bfloat16Li128ELi22ELi256ELi3072EEvPfPKT_PKf
                                        ; -- End function
	.section	.AMDGPU.csdata,"",@progbits
; Kernel info:
; codeLenInByte = 6120
; NumSgprs: 18
; NumVgprs: 124
; ScratchSize: 0
; MemoryBound: 0
; FloatMode: 240
; IeeeMode: 1
; LDSByteSize: 352 bytes/workgroup (compile time only)
; SGPRBlocks: 2
; VGPRBlocks: 15
; NumSGPRsForWavesPerEU: 18
; NumVGPRsForWavesPerEU: 124
; Occupancy: 10
; WaveLimiterHint : 1
; COMPUTE_PGM_RSRC2:SCRATCH_EN: 0
; COMPUTE_PGM_RSRC2:USER_SGPR: 15
; COMPUTE_PGM_RSRC2:TRAP_HANDLER: 0
; COMPUTE_PGM_RSRC2:TGID_X_EN: 1
; COMPUTE_PGM_RSRC2:TGID_Y_EN: 0
; COMPUTE_PGM_RSRC2:TGID_Z_EN: 0
; COMPUTE_PGM_RSRC2:TIDIG_COMP_CNT: 0
	.section	.text._Z23fp32_router_gemm_kernelI14__hip_bfloat16Li128ELi23ELi256ELi3072EEvPfPKT_PKf,"axG",@progbits,_Z23fp32_router_gemm_kernelI14__hip_bfloat16Li128ELi23ELi256ELi3072EEvPfPKT_PKf,comdat
	.protected	_Z23fp32_router_gemm_kernelI14__hip_bfloat16Li128ELi23ELi256ELi3072EEvPfPKT_PKf ; -- Begin function _Z23fp32_router_gemm_kernelI14__hip_bfloat16Li128ELi23ELi256ELi3072EEvPfPKT_PKf
	.globl	_Z23fp32_router_gemm_kernelI14__hip_bfloat16Li128ELi23ELi256ELi3072EEvPfPKT_PKf
	.p2align	8
	.type	_Z23fp32_router_gemm_kernelI14__hip_bfloat16Li128ELi23ELi256ELi3072EEvPfPKT_PKf,@function
_Z23fp32_router_gemm_kernelI14__hip_bfloat16Li128ELi23ELi256ELi3072EEvPfPKT_PKf: ; @_Z23fp32_router_gemm_kernelI14__hip_bfloat16Li128ELi23ELi256ELi3072EEvPfPKT_PKf
; %bb.0:
	s_clause 0x1
	s_load_b128 s[4:7], s[0:1], 0x0
	s_load_b64 s[0:1], s[0:1], 0x10
	v_dual_mov_b32 v29, 0 :: v_dual_lshlrev_b32 v30, 3, v0
	s_mul_i32 s8, s15, 0xc00
	v_dual_mov_b32 v28, 0 :: v_dual_mov_b32 v27, 0
	s_ashr_i32 s9, s8, 31
	s_delay_alu instid0(VALU_DEP_2)
	v_or_b32_e32 v31, 0x400, v30
	s_lshl_b64 s[8:9], s[8:9], 2
	v_or_b32_e32 v32, 0x800, v30
	v_dual_mov_b32 v26, 0 :: v_dual_mov_b32 v25, 0
	v_dual_mov_b32 v24, 0 :: v_dual_mov_b32 v23, 0
	v_dual_mov_b32 v22, 0 :: v_dual_mov_b32 v21, 0
	v_dual_mov_b32 v20, 0 :: v_dual_mov_b32 v19, 0
	v_dual_mov_b32 v18, 0 :: v_dual_mov_b32 v17, 0
	v_dual_mov_b32 v16, 0 :: v_dual_mov_b32 v15, 0
	v_dual_mov_b32 v14, 0 :: v_dual_mov_b32 v13, 0
	v_dual_mov_b32 v12, 0 :: v_dual_mov_b32 v11, 0
	v_dual_mov_b32 v10, 0 :: v_dual_mov_b32 v9, 0
	v_dual_mov_b32 v8, 0 :: v_dual_mov_b32 v7, 0
	s_waitcnt lgkmcnt(0)
	s_add_u32 s0, s0, s8
	s_mov_b32 s2, s15
	s_addc_u32 s1, s1, s9
	s_mov_b64 s[8:9], 0
.LBB54_1:                               ; =>This Inner Loop Header: Depth=1
	s_delay_alu instid0(SALU_CYCLE_1)
	s_cmp_eq_u32 s8, 1
	s_cselect_b32 vcc_lo, -1, 0
	s_cmp_eq_u32 s8, 2
	v_cndmask_b32_e32 v1, v30, v31, vcc_lo
	s_cselect_b32 vcc_lo, -1, 0
	s_add_u32 s8, s8, 1
	s_addc_u32 s9, s9, 0
	s_cmp_eq_u32 s8, 3
	v_cndmask_b32_e32 v33, v1, v32, vcc_lo
	s_delay_alu instid0(VALU_DEP_1) | instskip(NEXT) | instid1(VALU_DEP_1)
	v_lshlrev_b32_e32 v1, 1, v33
	v_add_co_u32 v34, s3, s6, v1
	s_delay_alu instid0(VALU_DEP_1)
	v_add_co_ci_u32_e64 v35, null, s7, 0, s3
	global_load_b128 v[1:4], v1, s[6:7]
	v_add_co_u32 v5, vcc_lo, 0x1000, v34
	v_add_co_ci_u32_e32 v6, vcc_lo, 0, v35, vcc_lo
	v_add_co_u32 v40, vcc_lo, 0x3000, v34
	v_add_co_ci_u32_e32 v41, vcc_lo, 0, v35, vcc_lo
	;; [unrolled: 2-line block ×13, first 2 shown]
	s_clause 0xc
	global_load_b128 v[36:39], v[5:6], off offset:2048
	global_load_b128 v[40:43], v[40:41], off
	global_load_b128 v[44:47], v[44:45], off offset:2048
	global_load_b128 v[48:51], v[48:49], off
	;; [unrolled: 2-line block ×6, first 2 shown]
	global_load_b128 v[84:87], v[84:85], off offset:2048
	s_waitcnt vmcnt(13)
	v_lshlrev_b32_e32 v88, 16, v1
	v_lshlrev_b32_e32 v90, 16, v2
	;; [unrolled: 1-line block ×4, first 2 shown]
	s_waitcnt vmcnt(12)
	v_lshlrev_b32_e32 v96, 16, v36
	v_and_b32_e32 v89, 0xffff0000, v1
	v_add_co_u32 v1, vcc_lo, 0x15000, v34
	s_waitcnt vmcnt(8)
	v_lshlrev_b32_e32 v100, 16, v52
	v_and_b32_e32 v91, 0xffff0000, v2
	v_add_co_ci_u32_e32 v2, vcc_lo, 0, v35, vcc_lo
	v_add_co_u32 v5, vcc_lo, 0x16000, v34
	v_add_co_ci_u32_e32 v6, vcc_lo, 0, v35, vcc_lo
	v_lshlrev_b32_e32 v94, 16, v4
	v_lshlrev_b32_e32 v98, 16, v44
	v_and_b32_e32 v93, 0xffff0000, v3
	s_waitcnt vmcnt(6)
	v_lshlrev_b32_e32 v102, 16, v60
	v_and_b32_e32 v95, 0xffff0000, v4
	v_and_b32_e32 v108, 0xffff0000, v36
	v_lshlrev_b32_e32 v109, 16, v37
	v_and_b32_e32 v121, 0xffff0000, v37
	v_lshlrev_b32_e32 v122, 16, v38
	;; [unrolled: 2-line block ×3, first 2 shown]
	v_and_b32_e32 v125, 0xffff0000, v39
	s_clause 0x1
	global_load_b128 v[1:4], v[1:2], off
	global_load_b128 v[36:39], v[5:6], off offset:2048
	s_waitcnt vmcnt(1)
	v_lshlrev_b32_e32 v152, 16, v1
	v_and_b32_e32 v153, 0xffff0000, v1
	v_add_co_u32 v1, vcc_lo, 0x18000, v34
	v_and_b32_e32 v155, 0xffff0000, v2
	v_and_b32_e32 v157, 0xffff0000, v3
	v_lshlrev_b32_e32 v154, 16, v2
	v_add_co_ci_u32_e32 v2, vcc_lo, 0, v35, vcc_lo
	v_add_co_u32 v5, vcc_lo, 0x19000, v34
	v_add_co_ci_u32_e32 v6, vcc_lo, 0, v35, vcc_lo
	v_lshlrev_b32_e32 v156, 16, v3
	v_lshlrev_b32_e32 v158, 16, v4
	v_and_b32_e32 v159, 0xffff0000, v4
	s_waitcnt vmcnt(0)
	v_lshlrev_b32_e32 v160, 16, v36
	v_and_b32_e32 v161, 0xffff0000, v36
	v_lshlrev_b32_e32 v162, 16, v37
	v_and_b32_e32 v163, 0xffff0000, v37
	;; [unrolled: 2-line block ×4, first 2 shown]
	s_clause 0x1
	global_load_b128 v[1:4], v[1:2], off
	global_load_b128 v[36:39], v[5:6], off offset:2048
	s_waitcnt vmcnt(1)
	v_lshlrev_b32_e32 v168, 16, v1
	v_and_b32_e32 v169, 0xffff0000, v1
	v_add_co_u32 v1, vcc_lo, 0x1b000, v34
	v_lshlrev_b32_e32 v170, 16, v2
	v_and_b32_e32 v171, 0xffff0000, v2
	v_add_co_ci_u32_e32 v2, vcc_lo, 0, v35, vcc_lo
	v_add_co_u32 v5, vcc_lo, 0x1c000, v34
	v_add_co_ci_u32_e32 v6, vcc_lo, 0, v35, vcc_lo
	v_lshlrev_b32_e32 v172, 16, v3
	v_and_b32_e32 v173, 0xffff0000, v3
	v_lshlrev_b32_e32 v174, 16, v4
	v_and_b32_e32 v175, 0xffff0000, v4
	s_waitcnt vmcnt(0)
	v_lshlrev_b32_e32 v176, 16, v36
	v_and_b32_e32 v177, 0xffff0000, v36
	v_lshlrev_b32_e32 v178, 16, v37
	v_and_b32_e32 v179, 0xffff0000, v37
	;; [unrolled: 2-line block ×4, first 2 shown]
	s_clause 0x1
	global_load_b128 v[1:4], v[1:2], off
	global_load_b128 v[36:39], v[5:6], off offset:2048
	s_waitcnt vmcnt(1)
	v_lshlrev_b32_e32 v184, 16, v1
	v_and_b32_e32 v185, 0xffff0000, v1
	v_add_co_u32 v1, vcc_lo, 0x1e000, v34
	v_lshlrev_b32_e32 v186, 16, v2
	v_and_b32_e32 v187, 0xffff0000, v2
	v_add_co_ci_u32_e32 v2, vcc_lo, 0, v35, vcc_lo
	v_add_co_u32 v5, vcc_lo, 0x1f000, v34
	v_add_co_ci_u32_e32 v6, vcc_lo, 0, v35, vcc_lo
	v_lshlrev_b32_e32 v188, 16, v3
	v_and_b32_e32 v189, 0xffff0000, v3
	v_lshlrev_b32_e32 v190, 16, v4
	s_waitcnt vmcnt(0)
	v_lshlrev_b32_e32 v192, 16, v36
	v_and_b32_e32 v193, 0xffff0000, v36
	v_lshlrev_b32_e32 v194, 16, v37
	v_and_b32_e32 v195, 0xffff0000, v37
	v_lshlrev_b32_e32 v196, 16, v38
	v_and_b32_e32 v197, 0xffff0000, v38
	v_lshlrev_b32_e32 v198, 16, v39
	v_and_b32_e32 v191, 0xffff0000, v4
	v_and_b32_e32 v199, 0xffff0000, v39
	s_clause 0x1
	global_load_b128 v[1:4], v[1:2], off
	global_load_b128 v[36:39], v[5:6], off offset:2048
	s_waitcnt vmcnt(1)
	v_lshlrev_b32_e32 v5, 16, v1
	v_and_b32_e32 v6, 0xffff0000, v1
	v_add_co_u32 v1, vcc_lo, 0x21000, v34
	v_lshlrev_b32_e32 v200, 16, v2
	v_and_b32_e32 v201, 0xffff0000, v2
	v_add_co_ci_u32_e32 v2, vcc_lo, 0, v35, vcc_lo
	v_lshlrev_b32_e32 v202, 16, v3
	v_and_b32_e32 v203, 0xffff0000, v3
	v_lshlrev_b32_e32 v204, 16, v4
	v_and_b32_e32 v205, 0xffff0000, v4
	global_load_b128 v[1:4], v[1:2], off
	s_waitcnt vmcnt(1)
	v_lshlrev_b32_e32 v206, 16, v36
	v_and_b32_e32 v207, 0xffff0000, v36
	s_waitcnt vmcnt(0)
	v_lshlrev_b32_e32 v211, 16, v1
	v_and_b32_e32 v212, 0xffff0000, v1
	v_lshlrev_b32_e32 v213, 16, v2
	v_and_b32_e32 v214, 0xffff0000, v2
	v_lshlrev_b32_e32 v215, 16, v3
	v_lshlrev_b32_e32 v217, 16, v4
	v_and_b32_e32 v218, 0xffff0000, v4
	v_and_b32_e32 v216, 0xffff0000, v3
	s_clause 0x1
	global_load_b128 v[1:4], v33, s[0:1]
	global_load_b128 v[33:36], v33, s[0:1] offset:16
	v_lshlrev_b32_e32 v117, 16, v69
	v_and_b32_e32 v44, 0xffff0000, v44
	v_lshlrev_b32_e32 v110, 16, v41
	v_lshlrev_b32_e32 v99, 16, v48
	;; [unrolled: 1-line block ×5, first 2 shown]
	s_waitcnt vmcnt(1)
	v_dual_fmac_f32 v12, v1, v176 :: v_dual_lshlrev_b32 v115, 16, v61
	v_fmac_f32_e32 v10, v1, v192
	v_lshlrev_b32_e32 v105, 16, v72
	v_fmac_f32_e32 v15, v1, v152
	v_fmac_f32_e32 v7, v1, v211
	s_delay_alu instid0(VALU_DEP_4) | instskip(NEXT) | instid1(VALU_DEP_4)
	v_dual_fmac_f32 v29, v1, v88 :: v_dual_fmac_f32 v10, v2, v193
	v_dual_fmac_f32 v19, v1, v105 :: v_dual_lshlrev_b32 v106, 16, v76
	v_lshlrev_b32_e32 v97, 16, v40
	v_fmac_f32_e32 v14, v1, v160
	s_delay_alu instid0(VALU_DEP_4) | instskip(NEXT) | instid1(VALU_DEP_4)
	v_fmac_f32_e32 v10, v3, v194
	v_dual_fmac_f32 v18, v1, v106 :: v_dual_lshlrev_b32 v101, 16, v56
	s_delay_alu instid0(VALU_DEP_4) | instskip(NEXT) | instid1(VALU_DEP_4)
	v_fmac_f32_e32 v27, v1, v97
	v_fmac_f32_e32 v14, v2, v161
	v_dual_fmac_f32 v26, v1, v98 :: v_dual_lshlrev_b32 v119, 16, v77
	v_dual_fmac_f32 v8, v1, v206 :: v_dual_and_b32 v77, 0xffff0000, v77
	v_dual_fmac_f32 v10, v4, v195 :: v_dual_lshlrev_b32 v107, 16, v80
	v_dual_fmac_f32 v15, v2, v153 :: v_dual_and_b32 v52, 0xffff0000, v52
	v_and_b32_e32 v80, 0xffff0000, v80
	v_dual_fmac_f32 v28, v1, v96 :: v_dual_fmac_f32 v29, v2, v89
	v_fmac_f32_e32 v23, v1, v101
	s_delay_alu instid0(VALU_DEP_4)
	v_fmac_f32_e32 v15, v3, v154
	v_fmac_f32_e32 v13, v1, v168
	v_and_b32_e32 v56, 0xffff0000, v56
	v_fmac_f32_e32 v8, v2, v207
	v_dual_fmac_f32 v17, v1, v107 :: v_dual_lshlrev_b32 v126, 16, v42
	v_dual_fmac_f32 v7, v2, v212 :: v_dual_and_b32 v42, 0xffff0000, v42
	v_lshlrev_b32_e32 v132, 16, v54
	v_fmac_f32_e32 v29, v3, v90
	v_fmac_f32_e32 v25, v1, v99
	s_delay_alu instid0(VALU_DEP_4) | instskip(NEXT) | instid1(VALU_DEP_3)
	v_dual_fmac_f32 v24, v1, v100 :: v_dual_fmac_f32 v7, v3, v213
	v_dual_fmac_f32 v29, v4, v91 :: v_dual_and_b32 v48, 0xffff0000, v48
	v_fmac_f32_e32 v11, v1, v184
	v_fmac_f32_e32 v13, v2, v169
	v_dual_fmac_f32 v23, v2, v56 :: v_dual_lshlrev_b32 v120, 16, v81
	v_and_b32_e32 v72, 0xffff0000, v72
	v_dual_fmac_f32 v9, v1, v5 :: v_dual_and_b32 v40, 0xffff0000, v40
	v_dual_fmac_f32 v25, v2, v48 :: v_dual_lshlrev_b32 v118, 16, v73
	s_delay_alu instid0(VALU_DEP_4) | instskip(NEXT) | instid1(VALU_DEP_4)
	v_fmac_f32_e32 v23, v3, v114
	v_fmac_f32_e32 v19, v2, v72
	v_dual_fmac_f32 v7, v4, v214 :: v_dual_and_b32 v60, 0xffff0000, v60
	v_dual_fmac_f32 v11, v2, v185 :: v_dual_and_b32 v76, 0xffff0000, v76
	s_delay_alu instid0(VALU_DEP_3) | instskip(SKIP_1) | instid1(VALU_DEP_3)
	v_dual_fmac_f32 v19, v3, v118 :: v_dual_lshlrev_b32 v116, 16, v65
	v_fmac_f32_e32 v27, v2, v40
	v_dual_fmac_f32 v18, v2, v76 :: v_dual_and_b32 v49, 0xffff0000, v49
	v_dual_fmac_f32 v25, v3, v112 :: v_dual_lshlrev_b32 v128, 16, v46
	v_dual_fmac_f32 v13, v3, v170 :: v_dual_lshlrev_b32 v148, 16, v84
	s_waitcnt vmcnt(0)
	v_dual_fmac_f32 v7, v33, v215 :: v_dual_lshlrev_b32 v150, 16, v86
	v_fmac_f32_e32 v22, v1, v102
	v_fmac_f32_e32 v24, v2, v52
	v_dual_fmac_f32 v12, v2, v177 :: v_dual_lshlrev_b32 v103, 16, v64
	v_lshlrev_b32_e32 v104, 16, v68
	v_dual_fmac_f32 v9, v2, v6 :: v_dual_and_b32 v64, 0xffff0000, v64
	v_dual_fmac_f32 v27, v3, v110 :: v_dual_and_b32 v68, 0xffff0000, v68
	v_dual_fmac_f32 v16, v1, v148 :: v_dual_lshlrev_b32 v111, 16, v45
	v_dual_fmac_f32 v22, v2, v60 :: v_dual_and_b32 v41, 0xffff0000, v41
	v_lshlrev_b32_e32 v134, 16, v58
	v_dual_fmac_f32 v25, v4, v49 :: v_dual_and_b32 v58, 0xffff0000, v58
	v_fmac_f32_e32 v28, v2, v108
	v_dual_fmac_f32 v26, v2, v44 :: v_dual_and_b32 v57, 0xffff0000, v57
	v_dual_fmac_f32 v17, v2, v80 :: v_dual_lshlrev_b32 v130, 16, v50
	v_dual_fmac_f32 v24, v3, v113 :: v_dual_fmac_f32 v7, v34, v216
	v_dual_fmac_f32 v11, v3, v186 :: v_dual_and_b32 v84, 0xffff0000, v84
	v_and_b32_e32 v53, 0xffff0000, v53
	v_dual_fmac_f32 v9, v3, v200 :: v_dual_and_b32 v50, 0xffff0000, v50
	v_fmac_f32_e32 v21, v1, v103
	v_fmac_f32_e32 v20, v1, v104
	v_dual_fmac_f32 v16, v2, v84 :: v_dual_lshlrev_b32 v131, 16, v51
	v_fmac_f32_e32 v24, v4, v53
	v_fmac_f32_e32 v28, v3, v109
	;; [unrolled: 1-line block ×3, first 2 shown]
	v_dual_fmac_f32 v23, v4, v57 :: v_dual_lshlrev_b32 v136, 16, v62
	v_fmac_f32_e32 v17, v3, v120
	v_fmac_f32_e32 v25, v33, v130
	v_dual_fmac_f32 v20, v2, v68 :: v_dual_and_b32 v45, 0xffff0000, v45
	v_dual_fmac_f32 v28, v4, v121 :: v_dual_lshlrev_b32 v129, 16, v47
	v_dual_fmac_f32 v29, v33, v92 :: v_dual_and_b32 v54, 0xffff0000, v54
	v_dual_fmac_f32 v24, v33, v132 :: v_dual_lshlrev_b32 v139, 16, v67
	v_dual_fmac_f32 v9, v4, v201 :: v_dual_lshlrev_b32 v144, 16, v78
	v_fmac_f32_e32 v27, v4, v41
	v_fmac_f32_e32 v23, v33, v134
	v_dual_fmac_f32 v14, v3, v162 :: v_dual_and_b32 v69, 0xffff0000, v69
	v_lshlrev_b32_e32 v149, 16, v85
	v_fmac_f32_e32 v25, v34, v50
	v_dual_fmac_f32 v12, v3, v178 :: v_dual_and_b32 v73, 0xffff0000, v73
	v_dual_fmac_f32 v20, v3, v117 :: v_dual_lshlrev_b32 v127, 16, v43
	v_lshlrev_b32_e32 v133, 16, v55
	s_delay_alu instid0(VALU_DEP_3)
	v_dual_fmac_f32 v12, v4, v179 :: v_dual_and_b32 v85, 0xffff0000, v85
	v_dual_fmac_f32 v24, v34, v54 :: v_dual_lshlrev_b32 v151, 16, v87
	v_fmac_f32_e32 v21, v2, v64
	v_dual_fmac_f32 v28, v33, v122 :: v_dual_lshlrev_b32 v137, 16, v63
	v_fmac_f32_e32 v14, v4, v163
	v_dual_fmac_f32 v16, v3, v149 :: v_dual_and_b32 v43, 0xffff0000, v43
	v_lshlrev_b32_e32 v135, 16, v59
	v_fmac_f32_e32 v9, v33, v202
	v_fmac_f32_e32 v23, v34, v58
	v_dual_fmac_f32 v18, v3, v119 :: v_dual_and_b32 v65, 0xffff0000, v65
	v_dual_fmac_f32 v20, v4, v69 :: v_dual_and_b32 v55, 0xffff0000, v55
	v_fmac_f32_e32 v16, v4, v85
	v_fmac_f32_e32 v28, v34, v123
	s_delay_alu instid0(VALU_DEP_4)
	v_fmac_f32_e32 v18, v4, v77
	v_dual_fmac_f32 v15, v4, v155 :: v_dual_lshlrev_b32 v140, 16, v70
	v_fmac_f32_e32 v9, v34, v203
	v_dual_fmac_f32 v12, v33, v180 :: v_dual_lshlrev_b32 v145, 16, v79
	v_fmac_f32_e32 v24, v35, v133
	v_fmac_f32_e32 v23, v35, v135
	v_dual_fmac_f32 v10, v33, v196 :: v_dual_and_b32 v79, 0xffff0000, v79
	v_dual_fmac_f32 v20, v33, v140 :: v_dual_lshlrev_b32 v141, 16, v71
	v_fmac_f32_e32 v28, v35, v124
	v_fmac_f32_e32 v24, v36, v55
	s_delay_alu instid0(VALU_DEP_4)
	v_fmac_f32_e32 v10, v34, v197
	v_dual_fmac_f32 v13, v4, v171 :: v_dual_and_b32 v70, 0xffff0000, v70
	v_fmac_f32_e32 v29, v34, v93
	v_fmac_f32_e32 v28, v36, v125
	v_dual_fmac_f32 v11, v4, v187 :: v_dual_lshlrev_b32 v142, 16, v74
	v_and_b32_e32 v74, 0xffff0000, v74
	v_dual_fmac_f32 v20, v34, v70 :: v_dual_and_b32 v47, 0xffff0000, v47
	v_fmac_f32_e32 v26, v4, v45
	v_dual_fmac_f32 v19, v4, v73 :: v_dual_lshlrev_b32 v138, 16, v66
	v_dual_fmac_f32 v18, v33, v144 :: v_dual_and_b32 v71, 0xffff0000, v71
	v_lshlrev_b32_e32 v208, 16, v37
	v_and_b32_e32 v81, 0xffff0000, v81
	v_fmac_f32_e32 v29, v35, v94
	v_dual_fmac_f32 v15, v33, v156 :: v_dual_and_b32 v78, 0xffff0000, v78
	v_fmac_f32_e32 v20, v35, v141
	v_fmac_f32_e32 v12, v34, v181
	v_dual_fmac_f32 v22, v3, v115 :: v_dual_and_b32 v61, 0xffff0000, v61
	v_dual_fmac_f32 v21, v3, v116 :: v_dual_and_b32 v46, 0xffff0000, v46
	;; [unrolled: 1-line block ×3, first 2 shown]
	v_dual_fmac_f32 v13, v33, v172 :: v_dual_lshlrev_b32 v146, 16, v82
	v_dual_fmac_f32 v8, v3, v208 :: v_dual_and_b32 v37, 0xffff0000, v37
	v_dual_fmac_f32 v17, v4, v81 :: v_dual_and_b32 v66, 0xffff0000, v66
	v_fmac_f32_e32 v19, v33, v142
	v_fmac_f32_e32 v18, v34, v78
	v_dual_fmac_f32 v12, v35, v182 :: v_dual_and_b32 v51, 0xffff0000, v51
	v_dual_fmac_f32 v22, v4, v61 :: v_dual_and_b32 v59, 0xffff0000, v59
	v_fmac_f32_e32 v8, v4, v37
	v_dual_fmac_f32 v21, v4, v65 :: v_dual_and_b32 v62, 0xffff0000, v62
	v_fmac_f32_e32 v17, v33, v146
	v_fmac_f32_e32 v26, v34, v46
	;; [unrolled: 1-line block ×3, first 2 shown]
	v_dual_fmac_f32 v11, v33, v188 :: v_dual_and_b32 v82, 0xffff0000, v82
	v_dual_fmac_f32 v18, v35, v145 :: v_dual_lshlrev_b32 v209, 16, v38
	v_fmac_f32_e32 v12, v36, v183
	v_lshlrev_b32_e32 v147, 16, v83
	v_and_b32_e32 v83, 0xffff0000, v83
	v_dual_fmac_f32 v22, v33, v136 :: v_dual_and_b32 v67, 0xffff0000, v67
	v_dual_fmac_f32 v16, v33, v150 :: v_dual_lshlrev_b32 v143, 16, v75
	v_dual_fmac_f32 v29, v36, v95 :: v_dual_and_b32 v86, 0xffff0000, v86
	v_dual_fmac_f32 v7, v35, v217 :: v_dual_and_b32 v38, 0xffff0000, v38
	v_fmac_f32_e32 v27, v33, v126
	v_fmac_f32_e32 v21, v33, v138
	v_dual_fmac_f32 v8, v33, v209 :: v_dual_fmac_f32 v17, v34, v82
	v_fmac_f32_e32 v26, v35, v129
	v_fmac_f32_e32 v13, v34, v173
	v_dual_fmac_f32 v14, v33, v164 :: v_dual_and_b32 v75, 0xffff0000, v75
	v_dual_fmac_f32 v22, v34, v62 :: v_dual_and_b32 v87, 0xffff0000, v87
	v_fmac_f32_e32 v27, v34, v42
	v_fmac_f32_e32 v21, v34, v66
	;; [unrolled: 1-line block ×6, first 2 shown]
	v_dual_fmac_f32 v8, v34, v38 :: v_dual_fmac_f32 v17, v35, v147
	v_dual_fmac_f32 v9, v35, v204 :: v_dual_fmac_f32 v18, v36, v79
	v_lshlrev_b32_e32 v210, 16, v39
	v_and_b32_e32 v39, 0xffff0000, v39
	v_fmac_f32_e32 v27, v35, v127
	s_delay_alu instid0(VALU_DEP_4)
	v_fmac_f32_e32 v9, v36, v205
	v_fmac_f32_e32 v25, v35, v131
	;; [unrolled: 1-line block ×11, first 2 shown]
	v_dual_fmac_f32 v8, v35, v210 :: v_dual_fmac_f32 v27, v36, v43
	v_fmac_f32_e32 v26, v36, v47
	v_fmac_f32_e32 v25, v36, v51
	;; [unrolled: 1-line block ×16, first 2 shown]
	s_cbranch_scc0 .LBB54_1
; %bb.2:
	v_mbcnt_lo_u32_b32 v5, -1, 0
	v_lshrrev_b32_e32 v31, 5, v0
	s_delay_alu instid0(VALU_DEP_2) | instskip(SKIP_1) | instid1(VALU_DEP_2)
	v_xor_b32_e32 v1, 16, v5
	v_xor_b32_e32 v2, 8, v5
	v_cmp_gt_i32_e32 vcc_lo, 32, v1
	v_cndmask_b32_e32 v1, v5, v1, vcc_lo
	s_delay_alu instid0(VALU_DEP_3) | instskip(SKIP_1) | instid1(VALU_DEP_1)
	v_cmp_gt_i32_e32 vcc_lo, 32, v2
	v_cndmask_b32_e32 v2, v5, v2, vcc_lo
	v_lshlrev_b32_e32 v2, 2, v2
	s_delay_alu instid0(VALU_DEP_4)
	v_lshlrev_b32_e32 v1, 2, v1
	ds_bpermute_b32 v3, v1, v29
	s_waitcnt lgkmcnt(0)
	v_add_f32_e32 v4, v29, v3
	v_xor_b32_e32 v3, 4, v5
	ds_bpermute_b32 v6, v2, v4
	v_cmp_gt_i32_e32 vcc_lo, 32, v3
	s_waitcnt lgkmcnt(0)
	v_dual_cndmask_b32 v3, v5, v3 :: v_dual_add_f32 v6, v4, v6
	s_delay_alu instid0(VALU_DEP_1)
	v_lshlrev_b32_e32 v3, 2, v3
	v_xor_b32_e32 v4, 2, v5
	ds_bpermute_b32 v29, v3, v6
	v_cmp_gt_i32_e32 vcc_lo, 32, v4
	s_waitcnt lgkmcnt(0)
	v_dual_cndmask_b32 v4, v5, v4 :: v_dual_add_f32 v29, v6, v29
	v_xor_b32_e32 v6, 1, v5
	s_delay_alu instid0(VALU_DEP_1) | instskip(NEXT) | instid1(VALU_DEP_3)
	v_cmp_gt_i32_e32 vcc_lo, 32, v6
	v_dual_cndmask_b32 v5, v5, v6 :: v_dual_lshlrev_b32 v4, 2, v4
	ds_bpermute_b32 v30, v4, v29
	v_lshlrev_b32_e32 v6, 2, v5
	v_and_b32_e32 v5, 31, v0
	s_delay_alu instid0(VALU_DEP_1)
	v_cmp_eq_u32_e32 vcc_lo, 0, v5
	v_lshlrev_b32_e32 v5, 2, v31
	s_waitcnt lgkmcnt(0)
	v_add_f32_e32 v29, v29, v30
	ds_bpermute_b32 v30, v6, v29
	s_and_saveexec_b32 s0, vcc_lo
	s_cbranch_execz .LBB54_4
; %bb.3:
	s_waitcnt lgkmcnt(0)
	v_add_f32_e32 v29, v29, v30
	ds_store_b32 v5, v29
.LBB54_4:
	s_or_b32 exec_lo, exec_lo, s0
	ds_bpermute_b32 v29, v1, v28
	s_waitcnt lgkmcnt(0)
	v_add_f32_e32 v28, v28, v29
	ds_bpermute_b32 v29, v2, v28
	s_waitcnt lgkmcnt(0)
	v_add_f32_e32 v28, v28, v29
	ds_bpermute_b32 v29, v3, v28
	s_waitcnt lgkmcnt(0)
	v_add_f32_e32 v28, v28, v29
	ds_bpermute_b32 v29, v4, v28
	s_waitcnt lgkmcnt(0)
	v_add_f32_e32 v28, v28, v29
	ds_bpermute_b32 v29, v6, v28
	s_and_saveexec_b32 s0, vcc_lo
	s_cbranch_execz .LBB54_6
; %bb.5:
	s_waitcnt lgkmcnt(0)
	v_add_f32_e32 v28, v28, v29
	ds_store_b32 v5, v28 offset:16
.LBB54_6:
	s_or_b32 exec_lo, exec_lo, s0
	ds_bpermute_b32 v28, v1, v27
	s_waitcnt lgkmcnt(0)
	v_add_f32_e32 v27, v27, v28
	ds_bpermute_b32 v28, v2, v27
	s_waitcnt lgkmcnt(0)
	v_add_f32_e32 v27, v27, v28
	ds_bpermute_b32 v28, v3, v27
	s_waitcnt lgkmcnt(0)
	v_add_f32_e32 v27, v27, v28
	ds_bpermute_b32 v28, v4, v27
	s_waitcnt lgkmcnt(0)
	v_add_f32_e32 v27, v27, v28
	ds_bpermute_b32 v28, v6, v27
	s_and_saveexec_b32 s0, vcc_lo
	s_cbranch_execz .LBB54_8
; %bb.7:
	s_waitcnt lgkmcnt(0)
	v_add_f32_e32 v27, v27, v28
	ds_store_b32 v5, v27 offset:32
.LBB54_8:
	;; [unrolled: 21-line block ×22, first 2 shown]
	s_or_b32 exec_lo, exec_lo, s0
	s_waitcnt lgkmcnt(0)
	s_barrier
	buffer_gl0_inv
	s_mov_b32 s0, exec_lo
	v_cmpx_eq_u32_e32 0, v0
	s_cbranch_execz .LBB54_50
; %bb.49:
	v_mov_b32_e32 v40, 0
	s_ashr_i32 s3, s2, 31
	ds_load_b128 v[0:3], v40
	ds_load_b128 v[4:7], v40 offset:16
	ds_load_b128 v[8:11], v40 offset:32
	;; [unrolled: 1-line block ×7, first 2 shown]
	s_lshl_b64 s[0:1], s[2:3], 2
	s_delay_alu instid0(SALU_CYCLE_1)
	s_add_u32 s0, s4, s0
	s_addc_u32 s1, s5, s1
	s_waitcnt lgkmcnt(4)
	v_add_f32_e32 v12, 0, v12
	v_add_f32_e32 v0, 0, v0
	s_waitcnt lgkmcnt(2)
	v_add_f32_e32 v20, 0, v20
	v_add_f32_e32 v4, 0, v4
	s_delay_alu instid0(VALU_DEP_3) | instskip(NEXT) | instid1(VALU_DEP_2)
	v_add_f32_e32 v0, v0, v1
	v_add_f32_e32 v1, v4, v5
	ds_load_b128 v[32:35], v40 offset:128
	ds_load_b128 v[36:39], v40 offset:144
	v_dual_add_f32 v8, 0, v8 :: v_dual_add_f32 v5, v12, v13
	v_dual_add_f32 v1, v1, v6 :: v_dual_add_f32 v16, 0, v16
	s_delay_alu instid0(VALU_DEP_2) | instskip(SKIP_1) | instid1(VALU_DEP_3)
	v_add_f32_e32 v4, v8, v9
	v_add_f32_e32 v9, v20, v21
	v_dual_add_f32 v21, v1, v7 :: v_dual_add_f32 v8, v16, v17
	s_delay_alu instid0(VALU_DEP_2) | instskip(SKIP_1) | instid1(VALU_DEP_1)
	v_add_f32_e32 v6, v9, v22
	s_waitcnt lgkmcnt(3)
	v_dual_add_f32 v24, 0, v24 :: v_dual_add_f32 v23, v6, v23
	s_waitcnt lgkmcnt(1)
	s_delay_alu instid0(VALU_DEP_1) | instskip(SKIP_1) | instid1(VALU_DEP_2)
	v_dual_add_f32 v12, v24, v25 :: v_dual_add_f32 v1, 0, v32
	v_add_f32_e32 v28, 0, v28
	v_dual_add_f32 v0, v0, v2 :: v_dual_add_f32 v9, v1, v33
	s_delay_alu instid0(VALU_DEP_1) | instskip(NEXT) | instid1(VALU_DEP_3)
	v_dual_mov_b32 v33, 0x2000 :: v_dual_add_f32 v20, v0, v3
	v_add_f32_e32 v0, v28, v29
	s_delay_alu instid0(VALU_DEP_3)
	v_dual_mov_b32 v28, 0x1000 :: v_dual_add_f32 v29, v9, v34
	v_add_f32_e32 v2, v4, v10
	v_add_f32_e32 v4, v5, v14
	;; [unrolled: 1-line block ×8, first 2 shown]
	ds_load_b128 v[0:3], v40 offset:160
	s_waitcnt lgkmcnt(1)
	v_dual_add_f32 v25, v5, v19 :: v_dual_add_f32 v12, 0, v36
	v_add_f32_e32 v26, v4, v27
	ds_load_b128 v[4:7], v40 offset:176
	v_add_f32_e32 v27, v8, v31
	ds_load_b128 v[8:11], v40 offset:192
	;; [unrolled: 2-line block ×3, first 2 shown]
	ds_load_b128 v[16:19], v40 offset:224
	s_waitcnt lgkmcnt(4)
	v_dual_mov_b32 v37, 0x3000 :: v_dual_add_f32 v0, 0, v0
	s_waitcnt lgkmcnt(3)
	v_add_f32_e32 v4, 0, v4
	s_waitcnt lgkmcnt(2)
	s_delay_alu instid0(VALU_DEP_2) | instskip(SKIP_1) | instid1(VALU_DEP_2)
	v_dual_add_f32 v0, v0, v1 :: v_dual_add_f32 v1, 0, v8
	s_waitcnt lgkmcnt(1)
	v_dual_add_f32 v4, v4, v5 :: v_dual_add_f32 v5, 0, v12
	s_delay_alu instid0(VALU_DEP_2) | instskip(SKIP_2) | instid1(VALU_DEP_3)
	v_dual_add_f32 v0, v0, v2 :: v_dual_add_f32 v1, v1, v9
	s_waitcnt lgkmcnt(0)
	v_add_f32_e32 v2, 0, v16
	v_dual_add_f32 v4, v4, v6 :: v_dual_add_f32 v5, v5, v13
	s_delay_alu instid0(VALU_DEP_3) | instskip(NEXT) | instid1(VALU_DEP_3)
	v_dual_add_f32 v35, v0, v3 :: v_dual_add_f32 v0, v1, v10
	v_add_f32_e32 v1, v2, v17
	s_clause 0x7
	global_store_b32 v40, v20, s[0:1]
	global_store_b32 v40, v21, s[0:1] offset:1024
	global_store_b32 v40, v22, s[0:1] offset:2048
	;; [unrolled: 1-line block ×3, first 2 shown]
	global_store_b32 v28, v25, s[0:1]
	global_store_b32 v28, v23, s[0:1] offset:1024
	global_store_b32 v28, v26, s[0:1] offset:2048
	;; [unrolled: 1-line block ×3, first 2 shown]
	v_add_f32_e32 v24, v30, v38
	ds_load_b128 v[20:23], v40 offset:240
	ds_load_b128 v[28:31], v40 offset:272
	v_add_f32_e32 v36, v4, v7
	v_add_f32_e32 v2, v5, v14
	;; [unrolled: 1-line block ×3, first 2 shown]
	ds_load_b128 v[24:27], v40 offset:256
	s_waitcnt lgkmcnt(2)
	v_dual_add_f32 v38, v2, v15 :: v_dual_add_f32 v3, 0, v20
	v_add_f32_e32 v20, v0, v11
	v_add_f32_e32 v0, v1, v18
	s_waitcnt lgkmcnt(0)
	s_delay_alu instid0(VALU_DEP_3) | instskip(NEXT) | instid1(VALU_DEP_2)
	v_dual_add_f32 v4, v3, v21 :: v_dual_add_f32 v5, 0, v24
	v_add_f32_e32 v21, v0, v19
	ds_load_b128 v[0:3], v40 offset:288
	v_add_f32_e32 v12, 0, v28
	v_add_f32_e32 v22, v4, v22
	;; [unrolled: 1-line block ×3, first 2 shown]
	ds_load_b128 v[4:7], v40 offset:304
	ds_load_b128 v[8:11], v40 offset:320
	v_add_f32_e32 v25, v12, v29
	ds_load_b128 v[12:15], v40 offset:336
	ds_load_b128 v[16:19], v40 offset:352
	v_dual_add_f32 v22, v22, v23 :: v_dual_add_f32 v23, v24, v26
	v_add_f32_e32 v24, v25, v30
	s_waitcnt lgkmcnt(4)
	v_add_f32_e32 v0, 0, v0
	s_waitcnt lgkmcnt(3)
	;; [unrolled: 2-line block ×4, first 2 shown]
	v_dual_add_f32 v0, v0, v1 :: v_dual_add_f32 v1, 0, v12
	s_waitcnt lgkmcnt(0)
	v_add_f32_e32 v12, 0, v16
	v_add_f32_e32 v4, v4, v5
	;; [unrolled: 1-line block ×3, first 2 shown]
	v_dual_add_f32 v0, v0, v2 :: v_dual_add_f32 v1, v1, v13
	s_delay_alu instid0(VALU_DEP_4) | instskip(NEXT) | instid1(VALU_DEP_4)
	v_add_f32_e32 v2, v12, v17
	v_add_f32_e32 v4, v4, v6
	s_delay_alu instid0(VALU_DEP_3) | instskip(NEXT) | instid1(VALU_DEP_4)
	v_dual_add_f32 v5, v5, v10 :: v_dual_add_f32 v0, v0, v3
	v_add_f32_e32 v1, v1, v14
	s_delay_alu instid0(VALU_DEP_3) | instskip(NEXT) | instid1(VALU_DEP_3)
	v_dual_add_f32 v2, v2, v18 :: v_dual_add_f32 v3, v4, v7
	v_dual_add_f32 v4, v5, v11 :: v_dual_mov_b32 v5, 0x5000
	s_clause 0x7
	global_store_b32 v33, v32, s[0:1]
	global_store_b32 v33, v34, s[0:1] offset:1024
	global_store_b32 v33, v35, s[0:1] offset:2048
	;; [unrolled: 1-line block ×3, first 2 shown]
	global_store_b32 v37, v20, s[0:1]
	global_store_b32 v37, v38, s[0:1] offset:1024
	global_store_b32 v37, v21, s[0:1] offset:2048
	;; [unrolled: 1-line block ×3, first 2 shown]
	v_dual_add_f32 v20, v23, v27 :: v_dual_mov_b32 v21, 0x4000
	v_add_f32_e32 v22, v24, v31
	v_add_f32_e32 v1, v1, v15
	;; [unrolled: 1-line block ×3, first 2 shown]
	s_clause 0x6
	global_store_b32 v21, v20, s[0:1]
	global_store_b32 v21, v22, s[0:1] offset:1024
	global_store_b32 v21, v0, s[0:1] offset:2048
	global_store_b32 v21, v3, s[0:1] offset:3072
	global_store_b32 v5, v4, s[0:1]
	global_store_b32 v5, v1, s[0:1] offset:1024
	global_store_b32 v5, v2, s[0:1] offset:2048
.LBB54_50:
	s_nop 0
	s_sendmsg sendmsg(MSG_DEALLOC_VGPRS)
	s_endpgm
	.section	.rodata,"a",@progbits
	.p2align	6, 0x0
	.amdhsa_kernel _Z23fp32_router_gemm_kernelI14__hip_bfloat16Li128ELi23ELi256ELi3072EEvPfPKT_PKf
		.amdhsa_group_segment_fixed_size 368
		.amdhsa_private_segment_fixed_size 0
		.amdhsa_kernarg_size 24
		.amdhsa_user_sgpr_count 15
		.amdhsa_user_sgpr_dispatch_ptr 0
		.amdhsa_user_sgpr_queue_ptr 0
		.amdhsa_user_sgpr_kernarg_segment_ptr 1
		.amdhsa_user_sgpr_dispatch_id 0
		.amdhsa_user_sgpr_private_segment_size 0
		.amdhsa_wavefront_size32 1
		.amdhsa_uses_dynamic_stack 0
		.amdhsa_enable_private_segment 0
		.amdhsa_system_sgpr_workgroup_id_x 1
		.amdhsa_system_sgpr_workgroup_id_y 0
		.amdhsa_system_sgpr_workgroup_id_z 0
		.amdhsa_system_sgpr_workgroup_info 0
		.amdhsa_system_vgpr_workitem_id 0
		.amdhsa_next_free_vgpr 219
		.amdhsa_next_free_sgpr 16
		.amdhsa_reserve_vcc 1
		.amdhsa_float_round_mode_32 0
		.amdhsa_float_round_mode_16_64 0
		.amdhsa_float_denorm_mode_32 3
		.amdhsa_float_denorm_mode_16_64 3
		.amdhsa_dx10_clamp 1
		.amdhsa_ieee_mode 1
		.amdhsa_fp16_overflow 0
		.amdhsa_workgroup_processor_mode 1
		.amdhsa_memory_ordered 1
		.amdhsa_forward_progress 0
		.amdhsa_shared_vgpr_count 0
		.amdhsa_exception_fp_ieee_invalid_op 0
		.amdhsa_exception_fp_denorm_src 0
		.amdhsa_exception_fp_ieee_div_zero 0
		.amdhsa_exception_fp_ieee_overflow 0
		.amdhsa_exception_fp_ieee_underflow 0
		.amdhsa_exception_fp_ieee_inexact 0
		.amdhsa_exception_int_div_zero 0
	.end_amdhsa_kernel
	.section	.text._Z23fp32_router_gemm_kernelI14__hip_bfloat16Li128ELi23ELi256ELi3072EEvPfPKT_PKf,"axG",@progbits,_Z23fp32_router_gemm_kernelI14__hip_bfloat16Li128ELi23ELi256ELi3072EEvPfPKT_PKf,comdat
.Lfunc_end54:
	.size	_Z23fp32_router_gemm_kernelI14__hip_bfloat16Li128ELi23ELi256ELi3072EEvPfPKT_PKf, .Lfunc_end54-_Z23fp32_router_gemm_kernelI14__hip_bfloat16Li128ELi23ELi256ELi3072EEvPfPKT_PKf
                                        ; -- End function
	.section	.AMDGPU.csdata,"",@progbits
; Kernel info:
; codeLenInByte = 6168
; NumSgprs: 18
; NumVgprs: 219
; ScratchSize: 0
; MemoryBound: 0
; FloatMode: 240
; IeeeMode: 1
; LDSByteSize: 368 bytes/workgroup (compile time only)
; SGPRBlocks: 2
; VGPRBlocks: 27
; NumSGPRsForWavesPerEU: 18
; NumVGPRsForWavesPerEU: 219
; Occupancy: 6
; WaveLimiterHint : 1
; COMPUTE_PGM_RSRC2:SCRATCH_EN: 0
; COMPUTE_PGM_RSRC2:USER_SGPR: 15
; COMPUTE_PGM_RSRC2:TRAP_HANDLER: 0
; COMPUTE_PGM_RSRC2:TGID_X_EN: 1
; COMPUTE_PGM_RSRC2:TGID_Y_EN: 0
; COMPUTE_PGM_RSRC2:TGID_Z_EN: 0
; COMPUTE_PGM_RSRC2:TIDIG_COMP_CNT: 0
	.section	.text._Z23fp32_router_gemm_kernelI14__hip_bfloat16Li128ELi24ELi256ELi3072EEvPfPKT_PKf,"axG",@progbits,_Z23fp32_router_gemm_kernelI14__hip_bfloat16Li128ELi24ELi256ELi3072EEvPfPKT_PKf,comdat
	.protected	_Z23fp32_router_gemm_kernelI14__hip_bfloat16Li128ELi24ELi256ELi3072EEvPfPKT_PKf ; -- Begin function _Z23fp32_router_gemm_kernelI14__hip_bfloat16Li128ELi24ELi256ELi3072EEvPfPKT_PKf
	.globl	_Z23fp32_router_gemm_kernelI14__hip_bfloat16Li128ELi24ELi256ELi3072EEvPfPKT_PKf
	.p2align	8
	.type	_Z23fp32_router_gemm_kernelI14__hip_bfloat16Li128ELi24ELi256ELi3072EEvPfPKT_PKf,@function
_Z23fp32_router_gemm_kernelI14__hip_bfloat16Li128ELi24ELi256ELi3072EEvPfPKT_PKf: ; @_Z23fp32_router_gemm_kernelI14__hip_bfloat16Li128ELi24ELi256ELi3072EEvPfPKT_PKf
; %bb.0:
	s_clause 0x1
	s_load_b128 s[4:7], s[0:1], 0x0
	s_load_b64 s[0:1], s[0:1], 0x10
	v_dual_mov_b32 v30, 0 :: v_dual_lshlrev_b32 v31, 3, v0
	s_mul_i32 s8, s15, 0xc00
	v_dual_mov_b32 v29, 0 :: v_dual_mov_b32 v28, 0
	s_ashr_i32 s9, s8, 31
	s_delay_alu instid0(VALU_DEP_2)
	v_or_b32_e32 v32, 0x400, v31
	s_lshl_b64 s[8:9], s[8:9], 2
	v_or_b32_e32 v33, 0x800, v31
	v_dual_mov_b32 v27, 0 :: v_dual_mov_b32 v26, 0
	v_dual_mov_b32 v25, 0 :: v_dual_mov_b32 v24, 0
	;; [unrolled: 1-line block ×10, first 2 shown]
	v_mov_b32_e32 v7, 0
	s_waitcnt lgkmcnt(0)
	s_add_u32 s0, s0, s8
	s_mov_b32 s2, s15
	s_addc_u32 s1, s1, s9
	s_mov_b64 s[8:9], 0
.LBB55_1:                               ; =>This Inner Loop Header: Depth=1
	s_delay_alu instid0(SALU_CYCLE_1)
	s_cmp_eq_u32 s8, 1
	s_cselect_b32 vcc_lo, -1, 0
	s_cmp_eq_u32 s8, 2
	v_cndmask_b32_e32 v1, v31, v32, vcc_lo
	s_cselect_b32 vcc_lo, -1, 0
	s_add_u32 s8, s8, 1
	s_addc_u32 s9, s9, 0
	s_cmp_eq_u32 s8, 3
	v_cndmask_b32_e32 v34, v1, v33, vcc_lo
	s_delay_alu instid0(VALU_DEP_1) | instskip(NEXT) | instid1(VALU_DEP_1)
	v_lshlrev_b32_e32 v1, 1, v34
	v_add_co_u32 v35, s3, s6, v1
	s_delay_alu instid0(VALU_DEP_1)
	v_add_co_ci_u32_e64 v36, null, s7, 0, s3
	global_load_b128 v[1:4], v1, s[6:7]
	v_add_co_u32 v5, vcc_lo, 0x1000, v35
	v_add_co_ci_u32_e32 v6, vcc_lo, 0, v36, vcc_lo
	v_add_co_u32 v41, vcc_lo, 0x3000, v35
	v_add_co_ci_u32_e32 v42, vcc_lo, 0, v36, vcc_lo
	;; [unrolled: 2-line block ×13, first 2 shown]
	s_clause 0xc
	global_load_b128 v[37:40], v[5:6], off offset:2048
	global_load_b128 v[41:44], v[41:42], off
	global_load_b128 v[45:48], v[45:46], off offset:2048
	global_load_b128 v[49:52], v[49:50], off
	;; [unrolled: 2-line block ×6, first 2 shown]
	global_load_b128 v[85:88], v[85:86], off offset:2048
	s_waitcnt vmcnt(13)
	v_lshlrev_b32_e32 v91, 16, v2
	v_and_b32_e32 v92, 0xffff0000, v2
	s_waitcnt vmcnt(12)
	v_and_b32_e32 v109, 0xffff0000, v37
	v_lshlrev_b32_e32 v110, 16, v38
	v_and_b32_e32 v122, 0xffff0000, v38
	v_lshlrev_b32_e32 v123, 16, v39
	v_and_b32_e32 v124, 0xffff0000, v39
	s_waitcnt vmcnt(7)
	v_lshlrev_b32_e32 v102, 16, v57
	v_lshlrev_b32_e32 v99, 16, v45
	v_and_b32_e32 v90, 0xffff0000, v1
	v_lshlrev_b32_e32 v89, 16, v1
	v_add_co_u32 v1, vcc_lo, 0x15000, v35
	v_add_co_ci_u32_e32 v2, vcc_lo, 0, v36, vcc_lo
	v_add_co_u32 v5, vcc_lo, 0x16000, v35
	v_add_co_ci_u32_e32 v6, vcc_lo, 0, v36, vcc_lo
	v_lshlrev_b32_e32 v93, 16, v3
	s_waitcnt vmcnt(5)
	v_lshlrev_b32_e32 v104, 16, v65
	v_lshlrev_b32_e32 v101, 16, v53
	v_and_b32_e32 v96, 0xffff0000, v4
	s_waitcnt vmcnt(3)
	v_lshlrev_b32_e32 v106, 16, v73
	v_lshlrev_b32_e32 v103, 16, v61
	;; [unrolled: 1-line block ×4, first 2 shown]
	s_waitcnt vmcnt(2)
	v_lshlrev_b32_e32 v107, 16, v77
	v_lshlrev_b32_e32 v100, 16, v49
	;; [unrolled: 1-line block ×3, first 2 shown]
	v_and_b32_e32 v94, 0xffff0000, v3
	v_lshlrev_b32_e32 v125, 16, v40
	v_and_b32_e32 v126, 0xffff0000, v40
	s_clause 0x1
	global_load_b128 v[1:4], v[1:2], off
	global_load_b128 v[37:40], v[5:6], off offset:2048
	s_waitcnt vmcnt(1)
	v_lshlrev_b32_e32 v153, 16, v1
	v_and_b32_e32 v154, 0xffff0000, v1
	v_add_co_u32 v1, vcc_lo, 0x18000, v35
	v_lshlrev_b32_e32 v155, 16, v2
	v_and_b32_e32 v156, 0xffff0000, v2
	v_add_co_ci_u32_e32 v2, vcc_lo, 0, v36, vcc_lo
	v_add_co_u32 v5, vcc_lo, 0x19000, v35
	v_add_co_ci_u32_e32 v6, vcc_lo, 0, v36, vcc_lo
	v_lshlrev_b32_e32 v157, 16, v3
	v_and_b32_e32 v158, 0xffff0000, v3
	v_lshlrev_b32_e32 v159, 16, v4
	v_and_b32_e32 v160, 0xffff0000, v4
	s_waitcnt vmcnt(0)
	v_lshlrev_b32_e32 v161, 16, v37
	v_and_b32_e32 v162, 0xffff0000, v37
	v_lshlrev_b32_e32 v163, 16, v38
	v_and_b32_e32 v164, 0xffff0000, v38
	;; [unrolled: 2-line block ×4, first 2 shown]
	s_clause 0x1
	global_load_b128 v[1:4], v[1:2], off
	global_load_b128 v[37:40], v[5:6], off offset:2048
	s_waitcnt vmcnt(1)
	v_lshlrev_b32_e32 v169, 16, v1
	v_and_b32_e32 v170, 0xffff0000, v1
	v_add_co_u32 v1, vcc_lo, 0x1b000, v35
	v_lshlrev_b32_e32 v171, 16, v2
	v_and_b32_e32 v172, 0xffff0000, v2
	v_add_co_ci_u32_e32 v2, vcc_lo, 0, v36, vcc_lo
	v_add_co_u32 v5, vcc_lo, 0x1c000, v35
	v_add_co_ci_u32_e32 v6, vcc_lo, 0, v36, vcc_lo
	v_and_b32_e32 v174, 0xffff0000, v3
	v_lshlrev_b32_e32 v173, 16, v3
	v_lshlrev_b32_e32 v175, 16, v4
	v_and_b32_e32 v176, 0xffff0000, v4
	s_waitcnt vmcnt(0)
	v_lshlrev_b32_e32 v177, 16, v37
	v_and_b32_e32 v178, 0xffff0000, v37
	v_lshlrev_b32_e32 v179, 16, v38
	v_and_b32_e32 v180, 0xffff0000, v38
	;; [unrolled: 2-line block ×4, first 2 shown]
	s_clause 0x1
	global_load_b128 v[1:4], v[1:2], off
	global_load_b128 v[37:40], v[5:6], off offset:2048
	v_lshlrev_b32_e32 v34, 2, v34
	s_waitcnt vmcnt(1)
	v_lshlrev_b32_e32 v185, 16, v1
	v_and_b32_e32 v186, 0xffff0000, v1
	v_add_co_u32 v1, vcc_lo, 0x1e000, v35
	v_lshlrev_b32_e32 v187, 16, v2
	v_and_b32_e32 v188, 0xffff0000, v2
	v_add_co_ci_u32_e32 v2, vcc_lo, 0, v36, vcc_lo
	v_add_co_u32 v5, vcc_lo, 0x1f000, v35
	v_add_co_ci_u32_e32 v6, vcc_lo, 0, v36, vcc_lo
	v_lshlrev_b32_e32 v189, 16, v3
	v_and_b32_e32 v190, 0xffff0000, v3
	v_lshlrev_b32_e32 v191, 16, v4
	v_and_b32_e32 v192, 0xffff0000, v4
	s_waitcnt vmcnt(0)
	v_lshlrev_b32_e32 v193, 16, v37
	v_and_b32_e32 v194, 0xffff0000, v37
	v_lshlrev_b32_e32 v195, 16, v38
	v_and_b32_e32 v196, 0xffff0000, v38
	;; [unrolled: 2-line block ×4, first 2 shown]
	s_clause 0x1
	global_load_b128 v[1:4], v[1:2], off
	global_load_b128 v[37:40], v[5:6], off offset:2048
	s_waitcnt vmcnt(1)
	v_lshlrev_b32_e32 v201, 16, v1
	v_and_b32_e32 v202, 0xffff0000, v1
	v_add_co_u32 v1, vcc_lo, 0x21000, v35
	v_lshlrev_b32_e32 v203, 16, v2
	v_and_b32_e32 v204, 0xffff0000, v2
	v_add_co_ci_u32_e32 v2, vcc_lo, 0, v36, vcc_lo
	v_add_co_u32 v5, vcc_lo, 0x22000, v35
	v_add_co_ci_u32_e32 v6, vcc_lo, 0, v36, vcc_lo
	v_lshlrev_b32_e32 v205, 16, v3
	v_lshlrev_b32_e32 v207, 16, v4
	v_and_b32_e32 v208, 0xffff0000, v4
	s_waitcnt vmcnt(0)
	v_lshlrev_b32_e32 v209, 16, v37
	v_and_b32_e32 v210, 0xffff0000, v37
	v_lshlrev_b32_e32 v211, 16, v38
	v_and_b32_e32 v212, 0xffff0000, v38
	;; [unrolled: 2-line block ×3, first 2 shown]
	s_clause 0x1
	global_load_b128 v[1:4], v[1:2], off
	global_load_b128 v[35:38], v[5:6], off offset:2048
	s_waitcnt vmcnt(1)
	v_lshlrev_b32_e32 v5, 16, v1
	v_and_b32_e32 v6, 0xffff0000, v1
	v_lshlrev_b32_e32 v215, 16, v2
	v_and_b32_e32 v216, 0xffff0000, v2
	;; [unrolled: 2-line block ×4, first 2 shown]
	s_waitcnt vmcnt(0)
	v_lshlrev_b32_e32 v221, 16, v35
	v_and_b32_e32 v222, 0xffff0000, v35
	v_lshlrev_b32_e32 v223, 16, v36
	v_and_b32_e32 v224, 0xffff0000, v36
	v_lshlrev_b32_e32 v225, 16, v37
	v_and_b32_e32 v226, 0xffff0000, v37
	s_clause 0x1
	global_load_b128 v[1:4], v34, s[0:1]
	global_load_b128 v[34:37], v34, s[0:1] offset:16
	v_lshlrev_b32_e32 v114, 16, v54
	v_lshlrev_b32_e32 v119, 16, v74
	;; [unrolled: 1-line block ×8, first 2 shown]
	v_and_b32_e32 v39, 0xffff0000, v39
	s_waitcnt vmcnt(1)
	v_dual_fmac_f32 v16, v1, v153 :: v_dual_lshlrev_b32 v111, 16, v42
	v_fmac_f32_e32 v30, v1, v89
	v_fmac_f32_e32 v15, v1, v161
	;; [unrolled: 1-line block ×3, first 2 shown]
	v_and_b32_e32 v53, 0xffff0000, v53
	v_fmac_f32_e32 v10, v1, v201
	v_and_b32_e32 v49, 0xffff0000, v49
	v_fmac_f32_e32 v15, v2, v162
	v_fmac_f32_e32 v24, v1, v102
	s_delay_alu instid0(VALU_DEP_4) | instskip(SKIP_4) | instid1(VALU_DEP_4)
	v_dual_fmac_f32 v27, v1, v99 :: v_dual_fmac_f32 v10, v2, v202
	v_fmac_f32_e32 v30, v2, v90
	v_dual_fmac_f32 v8, v2, v6 :: v_dual_lshlrev_b32 v149, 16, v85
	v_fmac_f32_e32 v9, v1, v209
	v_lshlrev_b32_e32 v108, 16, v81
	v_fmac_f32_e32 v30, v3, v91
	s_delay_alu instid0(VALU_DEP_4) | instskip(SKIP_1) | instid1(VALU_DEP_3)
	v_dual_fmac_f32 v8, v3, v215 :: v_dual_and_b32 v81, 0xffff0000, v81
	v_fmac_f32_e32 v10, v3, v203
	v_dual_fmac_f32 v30, v4, v92 :: v_dual_lshlrev_b32 v145, 16, v79
	s_delay_alu instid0(VALU_DEP_3)
	v_dual_fmac_f32 v8, v4, v216 :: v_dual_lshlrev_b32 v133, 16, v55
	v_fmac_f32_e32 v19, v1, v107
	v_fmac_f32_e32 v26, v1, v100
	s_waitcnt vmcnt(0)
	v_fmac_f32_e32 v30, v34, v93
	v_fmac_f32_e32 v29, v1, v97
	v_lshlrev_b32_e32 v143, 16, v75
	v_dual_fmac_f32 v10, v4, v204 :: v_dual_and_b32 v75, 0xffff0000, v75
	v_lshlrev_b32_e32 v151, 16, v87
	v_dual_fmac_f32 v8, v34, v217 :: v_dual_and_b32 v87, 0xffff0000, v87
	v_dual_fmac_f32 v9, v2, v210 :: v_dual_fmac_f32 v14, v1, v169
	v_fmac_f32_e32 v11, v1, v193
	s_delay_alu instid0(VALU_DEP_3) | instskip(NEXT) | instid1(VALU_DEP_3)
	v_dual_fmac_f32 v8, v35, v218 :: v_dual_and_b32 v41, 0xffff0000, v41
	v_dual_fmac_f32 v13, v1, v177 :: v_dual_fmac_f32 v14, v2, v170
	v_and_b32_e32 v73, 0xffff0000, v73
	v_fmac_f32_e32 v26, v2, v49
	s_delay_alu instid0(VALU_DEP_4) | instskip(SKIP_4) | instid1(VALU_DEP_4)
	v_fmac_f32_e32 v8, v36, v219
	v_dual_fmac_f32 v9, v3, v211 :: v_dual_lshlrev_b32 v134, 16, v56
	v_fmac_f32_e32 v11, v2, v194
	v_fmac_f32_e32 v20, v1, v106
	;; [unrolled: 1-line block ×3, first 2 shown]
	v_dual_fmac_f32 v28, v1, v98 :: v_dual_fmac_f32 v9, v4, v212
	v_lshlrev_b32_e32 v121, 16, v82
	v_fmac_f32_e32 v7, v1, v221
	v_fmac_f32_e32 v13, v2, v178
	s_delay_alu instid0(VALU_DEP_4) | instskip(SKIP_2) | instid1(VALU_DEP_3)
	v_fmac_f32_e32 v28, v2, v41
	v_fmac_f32_e32 v9, v34, v213
	v_dual_fmac_f32 v22, v1, v104 :: v_dual_and_b32 v57, 0xffff0000, v57
	v_dual_fmac_f32 v25, v1, v101 :: v_dual_fmac_f32 v28, v3, v111
	v_and_b32_e32 v50, 0xffff0000, v50
	v_fmac_f32_e32 v26, v3, v113
	s_delay_alu instid0(VALU_DEP_3)
	v_dual_fmac_f32 v14, v3, v171 :: v_dual_fmac_f32 v25, v2, v53
	v_dual_fmac_f32 v20, v2, v73 :: v_dual_lshlrev_b32 v129, 16, v47
	v_and_b32_e32 v65, 0xffff0000, v65
	v_dual_fmac_f32 v10, v34, v205 :: v_dual_and_b32 v47, 0xffff0000, v47
	v_fmac_f32_e32 v9, v35, v39
	v_dual_fmac_f32 v18, v1, v108 :: v_dual_lshlrev_b32 v105, 16, v69
	v_dual_fmac_f32 v26, v4, v50 :: v_dual_lshlrev_b32 v135, 16, v59
	v_fmac_f32_e32 v24, v2, v57
	v_fmac_f32_e32 v16, v2, v154
	v_dual_fmac_f32 v7, v2, v222 :: v_dual_fmac_f32 v20, v3, v119
	v_dual_fmac_f32 v22, v2, v65 :: v_dual_lshlrev_b32 v127, 16, v43
	v_lshlrev_b32_e32 v131, 16, v51
	v_fmac_f32_e32 v9, v36, v214
	v_fmac_f32_e32 v10, v35, v206
	v_dual_fmac_f32 v12, v1, v185 :: v_dual_lshlrev_b32 v115, 16, v58
	v_and_b32_e32 v61, 0xffff0000, v61
	v_dual_fmac_f32 v29, v2, v109 :: v_dual_and_b32 v42, 0xffff0000, v42
	v_dual_fmac_f32 v7, v3, v223 :: v_dual_and_b32 v56, 0xffff0000, v56
	s_delay_alu instid0(VALU_DEP_4)
	v_dual_fmac_f32 v21, v1, v105 :: v_dual_fmac_f32 v24, v3, v115
	v_fmac_f32_e32 v22, v3, v117
	v_dual_fmac_f32 v26, v34, v131 :: v_dual_and_b32 v69, 0xffff0000, v69
	v_fmac_f32_e32 v16, v3, v155
	v_and_b32_e32 v58, 0xffff0000, v58
	v_dual_fmac_f32 v17, v1, v149 :: v_dual_lshlrev_b32 v112, 16, v46
	v_dual_fmac_f32 v23, v2, v61 :: v_dual_and_b32 v54, 0xffff0000, v54
	v_and_b32_e32 v74, 0xffff0000, v74
	v_dual_fmac_f32 v28, v4, v42 :: v_dual_and_b32 v55, 0xffff0000, v55
	v_fmac_f32_e32 v21, v2, v69
	v_dual_fmac_f32 v24, v4, v58 :: v_dual_and_b32 v59, 0xffff0000, v59
	v_dual_fmac_f32 v30, v35, v94 :: v_dual_and_b32 v85, 0xffff0000, v85
	v_fmac_f32_e32 v7, v4, v224
	v_dual_fmac_f32 v18, v2, v81 :: v_dual_and_b32 v43, 0xffff0000, v43
	v_dual_fmac_f32 v23, v3, v116 :: v_dual_fmac_f32 v20, v4, v74
	s_delay_alu instid0(VALU_DEP_4)
	v_fmac_f32_e32 v30, v36, v95
	v_dual_fmac_f32 v17, v2, v85 :: v_dual_and_b32 v66, 0xffff0000, v66
	v_lshlrev_b32_e32 v137, 16, v63
	v_and_b32_e32 v63, 0xffff0000, v63
	v_fmac_f32_e32 v28, v34, v127
	v_fmac_f32_e32 v24, v34, v135
	v_dual_fmac_f32 v7, v34, v225 :: v_dual_lshlrev_b32 v128, 16, v44
	v_fmac_f32_e32 v25, v3, v114
	v_dual_fmac_f32 v29, v3, v110 :: v_dual_lshlrev_b32 v136, 16, v60
	v_fmac_f32_e32 v20, v34, v143
	v_fmac_f32_e32 v28, v35, v43
	s_delay_alu instid0(VALU_DEP_3)
	v_dual_fmac_f32 v24, v35, v59 :: v_dual_fmac_f32 v29, v4, v122
	v_fmac_f32_e32 v7, v35, v226
	v_dual_fmac_f32 v12, v2, v186 :: v_dual_and_b32 v45, 0xffff0000, v45
	v_and_b32_e32 v46, 0xffff0000, v46
	v_fmac_f32_e32 v20, v35, v75
	v_dual_fmac_f32 v13, v3, v179 :: v_dual_lshlrev_b32 v132, 16, v52
	s_delay_alu instid0(VALU_DEP_4)
	v_dual_fmac_f32 v27, v2, v45 :: v_dual_lshlrev_b32 v150, 16, v86
	v_dual_fmac_f32 v28, v36, v128 :: v_dual_and_b32 v77, 0xffff0000, v77
	v_fmac_f32_e32 v12, v3, v187
	v_and_b32_e32 v62, 0xffff0000, v62
	v_fmac_f32_e32 v24, v36, v136
	v_dual_fmac_f32 v11, v3, v195 :: v_dual_and_b32 v52, 0xffff0000, v52
	v_dual_fmac_f32 v27, v3, v112 :: v_dual_and_b32 v70, 0xffff0000, v70
	v_dual_fmac_f32 v25, v4, v54 :: v_dual_lshlrev_b32 v138, 16, v64
	s_delay_alu instid0(VALU_DEP_3)
	v_dual_fmac_f32 v11, v4, v196 :: v_dual_and_b32 v86, 0xffff0000, v86
	v_dual_fmac_f32 v19, v2, v77 :: v_dual_and_b32 v64, 0xffff0000, v64
	v_fmac_f32_e32 v23, v4, v62
	v_fmac_f32_e32 v15, v3, v163
	;; [unrolled: 1-line block ×3, first 2 shown]
	v_dual_fmac_f32 v17, v3, v150 :: v_dual_lshlrev_b32 v130, 16, v48
	v_and_b32_e32 v48, 0xffff0000, v48
	v_lshlrev_b32_e32 v142, 16, v72
	v_dual_fmac_f32 v29, v34, v123 :: v_dual_and_b32 v72, 0xffff0000, v72
	v_dual_fmac_f32 v21, v3, v118 :: v_dual_and_b32 v44, 0xffff0000, v44
	;; [unrolled: 1-line block ×5, first 2 shown]
	v_dual_fmac_f32 v22, v4, v66 :: v_dual_lshlrev_b32 v139, 16, v67
	v_dual_fmac_f32 v23, v34, v137 :: v_dual_lshlrev_b32 v146, 16, v80
	v_fmac_f32_e32 v29, v35, v124
	v_dual_fmac_f32 v16, v4, v156 :: v_dual_and_b32 v67, 0xffff0000, v67
	v_dual_fmac_f32 v21, v4, v70 :: v_dual_lshlrev_b32 v140, 16, v68
	v_dual_fmac_f32 v27, v34, v129 :: v_dual_lshlrev_b32 v144, 16, v76
	v_fmac_f32_e32 v18, v4, v82
	v_fmac_f32_e32 v22, v34, v139
	;; [unrolled: 1-line block ×3, first 2 shown]
	v_dual_fmac_f32 v14, v4, v172 :: v_dual_lshlrev_b32 v141, 16, v71
	v_fmac_f32_e32 v29, v36, v125
	v_dual_fmac_f32 v12, v4, v188 :: v_dual_and_b32 v71, 0xffff0000, v71
	v_dual_fmac_f32 v19, v3, v120 :: v_dual_and_b32 v78, 0xffff0000, v78
	s_delay_alu instid0(VALU_DEP_4) | instskip(SKIP_1) | instid1(VALU_DEP_4)
	v_dual_fmac_f32 v21, v34, v141 :: v_dual_and_b32 v80, 0xffff0000, v80
	v_dual_fmac_f32 v14, v34, v173 :: v_dual_lshlrev_b32 v147, 16, v83
	v_dual_fmac_f32 v12, v34, v189 :: v_dual_and_b32 v83, 0xffff0000, v83
	v_dual_fmac_f32 v30, v37, v96 :: v_dual_and_b32 v79, 0xffff0000, v79
	v_dual_fmac_f32 v16, v34, v157 :: v_dual_fmac_f32 v27, v35, v47
	v_fmac_f32_e32 v22, v35, v67
	v_dual_fmac_f32 v19, v4, v78 :: v_dual_and_b32 v68, 0xffff0000, v68
	v_dual_fmac_f32 v25, v34, v133 :: v_dual_and_b32 v76, 0xffff0000, v76
	v_fmac_f32_e32 v17, v4, v86
	v_fmac_f32_e32 v21, v35, v71
	;; [unrolled: 1-line block ×3, first 2 shown]
	v_dual_fmac_f32 v12, v35, v190 :: v_dual_fmac_f32 v13, v34, v181
	v_dual_fmac_f32 v22, v36, v140 :: v_dual_fmac_f32 v11, v34, v197
	v_fmac_f32_e32 v16, v35, v158
	v_dual_fmac_f32 v15, v34, v165 :: v_dual_lshlrev_b32 v152, 16, v88
	v_and_b32_e32 v88, 0xffff0000, v88
	v_dual_fmac_f32 v19, v34, v145 :: v_dual_lshlrev_b32 v148, 16, v84
	v_dual_fmac_f32 v17, v34, v151 :: v_dual_and_b32 v84, 0xffff0000, v84
	v_fmac_f32_e32 v18, v34, v147
	v_fmac_f32_e32 v25, v35, v55
	;; [unrolled: 1-line block ×14, first 2 shown]
	v_dual_fmac_f32 v12, v36, v191 :: v_dual_lshlrev_b32 v227, 16, v38
	v_and_b32_e32 v38, 0xffff0000, v38
	v_fmac_f32_e32 v26, v36, v132
	s_delay_alu instid0(VALU_DEP_4)
	v_fmac_f32_e32 v15, v37, v168
	v_fmac_f32_e32 v23, v36, v138
	;; [unrolled: 1-line block ×10, first 2 shown]
	v_dual_fmac_f32 v12, v37, v192 :: v_dual_fmac_f32 v7, v36, v227
	v_dual_fmac_f32 v29, v37, v126 :: v_dual_and_b32 v40, 0xffff0000, v40
	v_fmac_f32_e32 v28, v37, v44
	v_fmac_f32_e32 v27, v37, v48
	s_delay_alu instid0(VALU_DEP_4)
	v_fmac_f32_e32 v7, v37, v38
	v_fmac_f32_e32 v26, v37, v52
	;; [unrolled: 1-line block ×18, first 2 shown]
	s_cbranch_scc0 .LBB55_1
; %bb.2:
	v_mbcnt_lo_u32_b32 v5, -1, 0
	v_lshrrev_b32_e32 v32, 5, v0
	s_delay_alu instid0(VALU_DEP_2) | instskip(SKIP_1) | instid1(VALU_DEP_2)
	v_xor_b32_e32 v1, 16, v5
	v_xor_b32_e32 v2, 8, v5
	v_cmp_gt_i32_e32 vcc_lo, 32, v1
	v_cndmask_b32_e32 v1, v5, v1, vcc_lo
	s_delay_alu instid0(VALU_DEP_3) | instskip(SKIP_1) | instid1(VALU_DEP_1)
	v_cmp_gt_i32_e32 vcc_lo, 32, v2
	v_cndmask_b32_e32 v2, v5, v2, vcc_lo
	v_lshlrev_b32_e32 v2, 2, v2
	s_delay_alu instid0(VALU_DEP_4)
	v_lshlrev_b32_e32 v1, 2, v1
	ds_bpermute_b32 v3, v1, v30
	s_waitcnt lgkmcnt(0)
	v_add_f32_e32 v4, v30, v3
	v_xor_b32_e32 v3, 4, v5
	ds_bpermute_b32 v6, v2, v4
	v_cmp_gt_i32_e32 vcc_lo, 32, v3
	s_waitcnt lgkmcnt(0)
	v_dual_cndmask_b32 v3, v5, v3 :: v_dual_add_f32 v6, v4, v6
	s_delay_alu instid0(VALU_DEP_1)
	v_lshlrev_b32_e32 v3, 2, v3
	v_xor_b32_e32 v4, 2, v5
	ds_bpermute_b32 v30, v3, v6
	v_cmp_gt_i32_e32 vcc_lo, 32, v4
	v_cndmask_b32_e32 v4, v5, v4, vcc_lo
	s_waitcnt lgkmcnt(0)
	v_add_f32_e32 v30, v6, v30
	v_xor_b32_e32 v6, 1, v5
	s_delay_alu instid0(VALU_DEP_1) | instskip(SKIP_1) | instid1(VALU_DEP_1)
	v_cmp_gt_i32_e32 vcc_lo, 32, v6
	v_dual_cndmask_b32 v5, v5, v6 :: v_dual_lshlrev_b32 v4, 2, v4
	v_lshlrev_b32_e32 v6, 2, v5
	v_and_b32_e32 v5, 31, v0
	ds_bpermute_b32 v31, v4, v30
	v_cmp_eq_u32_e32 vcc_lo, 0, v5
	s_waitcnt lgkmcnt(0)
	v_dual_add_f32 v30, v30, v31 :: v_dual_lshlrev_b32 v5, 2, v32
	ds_bpermute_b32 v31, v6, v30
	s_and_saveexec_b32 s0, vcc_lo
	s_cbranch_execz .LBB55_4
; %bb.3:
	s_waitcnt lgkmcnt(0)
	v_add_f32_e32 v30, v30, v31
	ds_store_b32 v5, v30
.LBB55_4:
	s_or_b32 exec_lo, exec_lo, s0
	ds_bpermute_b32 v30, v1, v29
	s_waitcnt lgkmcnt(0)
	v_add_f32_e32 v29, v29, v30
	ds_bpermute_b32 v30, v2, v29
	s_waitcnt lgkmcnt(0)
	v_add_f32_e32 v29, v29, v30
	ds_bpermute_b32 v30, v3, v29
	s_waitcnt lgkmcnt(0)
	v_add_f32_e32 v29, v29, v30
	ds_bpermute_b32 v30, v4, v29
	s_waitcnt lgkmcnt(0)
	v_add_f32_e32 v29, v29, v30
	ds_bpermute_b32 v30, v6, v29
	s_and_saveexec_b32 s0, vcc_lo
	s_cbranch_execz .LBB55_6
; %bb.5:
	s_waitcnt lgkmcnt(0)
	v_add_f32_e32 v29, v29, v30
	ds_store_b32 v5, v29 offset:16
.LBB55_6:
	s_or_b32 exec_lo, exec_lo, s0
	ds_bpermute_b32 v29, v1, v28
	s_waitcnt lgkmcnt(0)
	v_add_f32_e32 v28, v28, v29
	ds_bpermute_b32 v29, v2, v28
	s_waitcnt lgkmcnt(0)
	v_add_f32_e32 v28, v28, v29
	ds_bpermute_b32 v29, v3, v28
	s_waitcnt lgkmcnt(0)
	v_add_f32_e32 v28, v28, v29
	ds_bpermute_b32 v29, v4, v28
	s_waitcnt lgkmcnt(0)
	v_add_f32_e32 v28, v28, v29
	ds_bpermute_b32 v29, v6, v28
	s_and_saveexec_b32 s0, vcc_lo
	s_cbranch_execz .LBB55_8
; %bb.7:
	s_waitcnt lgkmcnt(0)
	v_add_f32_e32 v28, v28, v29
	ds_store_b32 v5, v28 offset:32
.LBB55_8:
	;; [unrolled: 21-line block ×23, first 2 shown]
	s_or_b32 exec_lo, exec_lo, s0
	s_waitcnt lgkmcnt(0)
	s_barrier
	buffer_gl0_inv
	s_mov_b32 s0, exec_lo
	v_cmpx_eq_u32_e32 0, v0
	s_cbranch_execz .LBB55_52
; %bb.51:
	v_mov_b32_e32 v40, 0
	s_ashr_i32 s3, s2, 31
	ds_load_b128 v[0:3], v40
	ds_load_b128 v[4:7], v40 offset:16
	ds_load_b128 v[8:11], v40 offset:32
	;; [unrolled: 1-line block ×8, first 2 shown]
	s_lshl_b64 s[0:1], s[2:3], 2
	s_delay_alu instid0(SALU_CYCLE_1)
	s_add_u32 s0, s4, s0
	s_addc_u32 s1, s5, s1
	s_waitcnt lgkmcnt(5)
	v_add_f32_e32 v12, 0, v12
	v_add_f32_e32 v0, 0, v0
	s_waitcnt lgkmcnt(3)
	v_add_f32_e32 v20, 0, v20
	v_add_f32_e32 v4, 0, v4
	;; [unrolled: 3-line block ×3, first 2 shown]
	v_add_f32_e32 v0, v0, v1
	v_dual_add_f32 v16, 0, v16 :: v_dual_add_f32 v1, v4, v5
	ds_load_b128 v[36:39], v40 offset:144
	v_add_f32_e32 v0, v0, v2
	v_add_f32_e32 v1, v1, v6
	;; [unrolled: 1-line block ×12, first 2 shown]
	s_delay_alu instid0(VALU_DEP_1) | instskip(NEXT) | instid1(VALU_DEP_4)
	v_add_f32_e32 v12, v24, v25
	v_add_f32_e32 v24, v2, v11
	ds_load_b128 v[0:3], v40 offset:160
	v_add_f32_e32 v8, v16, v17
	s_waitcnt lgkmcnt(1)
	v_dual_add_f32 v25, v4, v15 :: v_dual_add_f32 v30, 0, v36
	s_delay_alu instid0(VALU_DEP_2) | instskip(NEXT) | instid1(VALU_DEP_1)
	v_add_f32_e32 v5, v8, v18
	v_dual_add_f32 v28, v5, v19 :: v_dual_add_f32 v5, v12, v26
	s_delay_alu instid0(VALU_DEP_1) | instskip(SKIP_2) | instid1(VALU_DEP_1)
	v_add_f32_e32 v26, v5, v27
	s_waitcnt lgkmcnt(0)
	v_dual_add_f32 v27, v6, v31 :: v_dual_add_f32 v0, 0, v0
	v_add_f32_e32 v0, v0, v1
	s_delay_alu instid0(VALU_DEP_1) | instskip(SKIP_1) | instid1(VALU_DEP_1)
	v_add_f32_e32 v0, v0, v2
	v_add_f32_e32 v4, v9, v22
	v_dual_add_f32 v32, 0, v32 :: v_dual_add_f32 v23, v4, v23
	s_delay_alu instid0(VALU_DEP_1) | instskip(NEXT) | instid1(VALU_DEP_1)
	v_add_f32_e32 v7, v32, v33
	v_add_f32_e32 v29, v7, v34
	ds_load_b128 v[4:7], v40 offset:176
	ds_load_b128 v[8:11], v40 offset:192
	;; [unrolled: 1-line block ×4, first 2 shown]
	v_mov_b32_e32 v22, 0x1000
	s_clause 0x7
	global_store_b32 v40, v20, s[0:1]
	global_store_b32 v40, v21, s[0:1] offset:1024
	global_store_b32 v40, v24, s[0:1] offset:2048
	;; [unrolled: 1-line block ×3, first 2 shown]
	global_store_b32 v22, v28, s[0:1]
	global_store_b32 v22, v23, s[0:1] offset:1024
	global_store_b32 v22, v26, s[0:1] offset:2048
	;; [unrolled: 1-line block ×3, first 2 shown]
	v_add_f32_e32 v24, v30, v37
	ds_load_b128 v[20:23], v40 offset:240
	v_add_f32_e32 v36, v29, v35
	ds_load_b128 v[32:35], v40 offset:288
	v_dual_mov_b32 v37, 0x2000 :: v_dual_add_f32 v28, v24, v38
	ds_load_b128 v[24:27], v40 offset:256
	v_add_f32_e32 v38, v28, v39
	ds_load_b128 v[28:31], v40 offset:272
	v_add_f32_e32 v39, v0, v3
	s_waitcnt lgkmcnt(7)
	v_add_f32_e32 v1, 0, v4
	s_waitcnt lgkmcnt(6)
	s_delay_alu instid0(VALU_DEP_1) | instskip(NEXT) | instid1(VALU_DEP_1)
	v_dual_add_f32 v4, 0, v8 :: v_dual_add_f32 v1, v1, v5
	v_add_f32_e32 v2, v4, v9
	s_waitcnt lgkmcnt(5)
	v_add_f32_e32 v4, 0, v12
	s_waitcnt lgkmcnt(4)
	v_add_f32_e32 v5, 0, v16
	s_waitcnt lgkmcnt(2)
	v_add_f32_e32 v8, 0, v32
	v_add_f32_e32 v0, v1, v6
	v_dual_add_f32 v1, v2, v10 :: v_dual_add_f32 v2, v4, v13
	v_dual_add_f32 v3, v5, v17 :: v_dual_add_f32 v4, 0, v20
	s_delay_alu instid0(VALU_DEP_3) | instskip(NEXT) | instid1(VALU_DEP_3)
	v_add_f32_e32 v20, v0, v7
	v_dual_add_f32 v41, v1, v11 :: v_dual_add_f32 v0, v2, v14
	s_delay_alu instid0(VALU_DEP_3)
	v_dual_add_f32 v1, v3, v18 :: v_dual_add_f32 v2, v4, v21
	s_waitcnt lgkmcnt(1)
	v_add_f32_e32 v3, 0, v24
	s_waitcnt lgkmcnt(0)
	v_add_f32_e32 v6, 0, v28
	v_add_f32_e32 v24, v0, v15
	;; [unrolled: 1-line block ×3, first 2 shown]
	v_dual_add_f32 v4, v2, v22 :: v_dual_add_f32 v5, v3, v25
	ds_load_b128 v[0:3], v40 offset:304
	v_add_f32_e32 v25, v6, v29
	v_dual_mov_b32 v21, 0x3000 :: v_dual_add_f32 v22, v4, v23
	v_add_f32_e32 v23, v5, v26
	ds_load_b128 v[4:7], v40 offset:320
	v_add_f32_e32 v26, v8, v33
	ds_load_b128 v[8:11], v40 offset:336
	ds_load_b128 v[12:15], v40 offset:352
	;; [unrolled: 1-line block ×3, first 2 shown]
	s_waitcnt lgkmcnt(4)
	v_add_f32_e32 v0, 0, v0
	s_waitcnt lgkmcnt(3)
	v_add_f32_e32 v4, 0, v4
	s_waitcnt lgkmcnt(2)
	s_delay_alu instid0(VALU_DEP_2)
	v_dual_add_f32 v0, v0, v1 :: v_dual_add_f32 v1, 0, v8
	s_waitcnt lgkmcnt(1)
	v_add_f32_e32 v8, 0, v12
	s_waitcnt lgkmcnt(0)
	v_add_f32_e32 v12, 0, v16
	v_add_f32_e32 v4, v4, v5
	v_dual_add_f32 v0, v0, v2 :: v_dual_add_f32 v1, v1, v9
	v_add_f32_e32 v2, v8, v13
	s_delay_alu instid0(VALU_DEP_4)
	v_add_f32_e32 v5, v12, v17
	s_clause 0x7
	global_store_b32 v37, v36, s[0:1]
	global_store_b32 v37, v38, s[0:1] offset:1024
	global_store_b32 v37, v39, s[0:1] offset:2048
	;; [unrolled: 1-line block ×3, first 2 shown]
	global_store_b32 v21, v41, s[0:1]
	global_store_b32 v21, v24, s[0:1] offset:1024
	global_store_b32 v21, v42, s[0:1] offset:2048
	;; [unrolled: 1-line block ×3, first 2 shown]
	v_add_f32_e32 v20, v25, v30
	v_add_f32_e32 v21, v26, v34
	;; [unrolled: 1-line block ×3, first 2 shown]
	v_dual_add_f32 v22, v23, v27 :: v_dual_mov_b32 v23, 0x4000
	v_dual_add_f32 v0, v0, v3 :: v_dual_add_f32 v1, v1, v10
	v_add_f32_e32 v2, v2, v14
	v_dual_add_f32 v3, v5, v18 :: v_dual_add_f32 v20, v20, v31
	v_add_f32_e32 v21, v21, v35
	v_dual_add_f32 v4, v4, v7 :: v_dual_mov_b32 v5, 0x5000
	v_add_f32_e32 v1, v1, v11
	v_add_f32_e32 v2, v2, v15
	;; [unrolled: 1-line block ×3, first 2 shown]
	s_clause 0x7
	global_store_b32 v23, v22, s[0:1]
	global_store_b32 v23, v20, s[0:1] offset:1024
	global_store_b32 v23, v21, s[0:1] offset:2048
	;; [unrolled: 1-line block ×3, first 2 shown]
	global_store_b32 v5, v4, s[0:1]
	global_store_b32 v5, v1, s[0:1] offset:1024
	global_store_b32 v5, v2, s[0:1] offset:2048
	;; [unrolled: 1-line block ×3, first 2 shown]
.LBB55_52:
	s_nop 0
	s_sendmsg sendmsg(MSG_DEALLOC_VGPRS)
	s_endpgm
	.section	.rodata,"a",@progbits
	.p2align	6, 0x0
	.amdhsa_kernel _Z23fp32_router_gemm_kernelI14__hip_bfloat16Li128ELi24ELi256ELi3072EEvPfPKT_PKf
		.amdhsa_group_segment_fixed_size 384
		.amdhsa_private_segment_fixed_size 0
		.amdhsa_kernarg_size 24
		.amdhsa_user_sgpr_count 15
		.amdhsa_user_sgpr_dispatch_ptr 0
		.amdhsa_user_sgpr_queue_ptr 0
		.amdhsa_user_sgpr_kernarg_segment_ptr 1
		.amdhsa_user_sgpr_dispatch_id 0
		.amdhsa_user_sgpr_private_segment_size 0
		.amdhsa_wavefront_size32 1
		.amdhsa_uses_dynamic_stack 0
		.amdhsa_enable_private_segment 0
		.amdhsa_system_sgpr_workgroup_id_x 1
		.amdhsa_system_sgpr_workgroup_id_y 0
		.amdhsa_system_sgpr_workgroup_id_z 0
		.amdhsa_system_sgpr_workgroup_info 0
		.amdhsa_system_vgpr_workitem_id 0
		.amdhsa_next_free_vgpr 228
		.amdhsa_next_free_sgpr 16
		.amdhsa_reserve_vcc 1
		.amdhsa_float_round_mode_32 0
		.amdhsa_float_round_mode_16_64 0
		.amdhsa_float_denorm_mode_32 3
		.amdhsa_float_denorm_mode_16_64 3
		.amdhsa_dx10_clamp 1
		.amdhsa_ieee_mode 1
		.amdhsa_fp16_overflow 0
		.amdhsa_workgroup_processor_mode 1
		.amdhsa_memory_ordered 1
		.amdhsa_forward_progress 0
		.amdhsa_shared_vgpr_count 0
		.amdhsa_exception_fp_ieee_invalid_op 0
		.amdhsa_exception_fp_denorm_src 0
		.amdhsa_exception_fp_ieee_div_zero 0
		.amdhsa_exception_fp_ieee_overflow 0
		.amdhsa_exception_fp_ieee_underflow 0
		.amdhsa_exception_fp_ieee_inexact 0
		.amdhsa_exception_int_div_zero 0
	.end_amdhsa_kernel
	.section	.text._Z23fp32_router_gemm_kernelI14__hip_bfloat16Li128ELi24ELi256ELi3072EEvPfPKT_PKf,"axG",@progbits,_Z23fp32_router_gemm_kernelI14__hip_bfloat16Li128ELi24ELi256ELi3072EEvPfPKT_PKf,comdat
.Lfunc_end55:
	.size	_Z23fp32_router_gemm_kernelI14__hip_bfloat16Li128ELi24ELi256ELi3072EEvPfPKT_PKf, .Lfunc_end55-_Z23fp32_router_gemm_kernelI14__hip_bfloat16Li128ELi24ELi256ELi3072EEvPfPKT_PKf
                                        ; -- End function
	.section	.AMDGPU.csdata,"",@progbits
; Kernel info:
; codeLenInByte = 6424
; NumSgprs: 18
; NumVgprs: 228
; ScratchSize: 0
; MemoryBound: 0
; FloatMode: 240
; IeeeMode: 1
; LDSByteSize: 384 bytes/workgroup (compile time only)
; SGPRBlocks: 2
; VGPRBlocks: 28
; NumSGPRsForWavesPerEU: 18
; NumVGPRsForWavesPerEU: 228
; Occupancy: 6
; WaveLimiterHint : 1
; COMPUTE_PGM_RSRC2:SCRATCH_EN: 0
; COMPUTE_PGM_RSRC2:USER_SGPR: 15
; COMPUTE_PGM_RSRC2:TRAP_HANDLER: 0
; COMPUTE_PGM_RSRC2:TGID_X_EN: 1
; COMPUTE_PGM_RSRC2:TGID_Y_EN: 0
; COMPUTE_PGM_RSRC2:TGID_Z_EN: 0
; COMPUTE_PGM_RSRC2:TIDIG_COMP_CNT: 0
	.section	.text._Z23fp32_router_gemm_kernelI14__hip_bfloat16Li128ELi25ELi256ELi3072EEvPfPKT_PKf,"axG",@progbits,_Z23fp32_router_gemm_kernelI14__hip_bfloat16Li128ELi25ELi256ELi3072EEvPfPKT_PKf,comdat
	.protected	_Z23fp32_router_gemm_kernelI14__hip_bfloat16Li128ELi25ELi256ELi3072EEvPfPKT_PKf ; -- Begin function _Z23fp32_router_gemm_kernelI14__hip_bfloat16Li128ELi25ELi256ELi3072EEvPfPKT_PKf
	.globl	_Z23fp32_router_gemm_kernelI14__hip_bfloat16Li128ELi25ELi256ELi3072EEvPfPKT_PKf
	.p2align	8
	.type	_Z23fp32_router_gemm_kernelI14__hip_bfloat16Li128ELi25ELi256ELi3072EEvPfPKT_PKf,@function
_Z23fp32_router_gemm_kernelI14__hip_bfloat16Li128ELi25ELi256ELi3072EEvPfPKT_PKf: ; @_Z23fp32_router_gemm_kernelI14__hip_bfloat16Li128ELi25ELi256ELi3072EEvPfPKT_PKf
; %bb.0:
	s_clause 0x1
	s_load_b128 s[4:7], s[0:1], 0x0
	s_load_b64 s[0:1], s[0:1], 0x10
	v_dual_mov_b32 v31, 0 :: v_dual_lshlrev_b32 v32, 3, v0
	s_mul_i32 s8, s15, 0xc00
	v_dual_mov_b32 v30, 0 :: v_dual_mov_b32 v29, 0
	s_ashr_i32 s9, s8, 31
	s_delay_alu instid0(VALU_DEP_2)
	v_or_b32_e32 v33, 0x400, v32
	s_lshl_b64 s[8:9], s[8:9], 2
	v_or_b32_e32 v34, 0x800, v32
	v_dual_mov_b32 v28, 0 :: v_dual_mov_b32 v27, 0
	v_dual_mov_b32 v26, 0 :: v_dual_mov_b32 v25, 0
	;; [unrolled: 1-line block ×11, first 2 shown]
	s_waitcnt lgkmcnt(0)
	s_add_u32 s0, s0, s8
	s_mov_b32 s2, s15
	s_addc_u32 s1, s1, s9
	s_mov_b64 s[8:9], 0
.LBB56_1:                               ; =>This Inner Loop Header: Depth=1
	s_delay_alu instid0(SALU_CYCLE_1)
	s_cmp_eq_u32 s8, 1
	s_cselect_b32 vcc_lo, -1, 0
	s_cmp_eq_u32 s8, 2
	v_cndmask_b32_e32 v1, v32, v33, vcc_lo
	s_cselect_b32 vcc_lo, -1, 0
	s_add_u32 s8, s8, 1
	s_addc_u32 s9, s9, 0
	s_cmp_eq_u32 s8, 3
	v_cndmask_b32_e32 v35, v1, v34, vcc_lo
	s_delay_alu instid0(VALU_DEP_1) | instskip(NEXT) | instid1(VALU_DEP_1)
	v_lshlrev_b32_e32 v1, 1, v35
	v_add_co_u32 v36, s3, s6, v1
	s_delay_alu instid0(VALU_DEP_1)
	v_add_co_ci_u32_e64 v37, null, s7, 0, s3
	global_load_b128 v[1:4], v1, s[6:7]
	v_add_co_u32 v5, vcc_lo, 0x1000, v36
	v_add_co_ci_u32_e32 v6, vcc_lo, 0, v37, vcc_lo
	v_add_co_u32 v42, vcc_lo, 0x3000, v36
	v_add_co_ci_u32_e32 v43, vcc_lo, 0, v37, vcc_lo
	;; [unrolled: 2-line block ×13, first 2 shown]
	s_clause 0xc
	global_load_b128 v[38:41], v[5:6], off offset:2048
	global_load_b128 v[42:45], v[42:43], off
	global_load_b128 v[46:49], v[46:47], off offset:2048
	global_load_b128 v[50:53], v[50:51], off
	global_load_b128 v[54:57], v[54:55], off offset:2048
	global_load_b128 v[58:61], v[58:59], off
	global_load_b128 v[62:65], v[62:63], off offset:2048
	global_load_b128 v[66:69], v[66:67], off
	global_load_b128 v[70:73], v[70:71], off offset:2048
	global_load_b128 v[74:77], v[74:75], off
	global_load_b128 v[78:81], v[78:79], off offset:2048
	global_load_b128 v[82:85], v[82:83], off
	global_load_b128 v[86:89], v[86:87], off offset:2048
	s_waitcnt vmcnt(13)
	v_lshlrev_b32_e32 v90, 16, v1
	v_lshlrev_b32_e32 v92, 16, v2
	;; [unrolled: 1-line block ×4, first 2 shown]
	s_waitcnt vmcnt(12)
	v_lshlrev_b32_e32 v98, 16, v38
	v_and_b32_e32 v91, 0xffff0000, v1
	v_add_co_u32 v1, vcc_lo, 0x15000, v36
	s_waitcnt vmcnt(10)
	v_lshlrev_b32_e32 v100, 16, v46
	v_and_b32_e32 v93, 0xffff0000, v2
	v_add_co_ci_u32_e32 v2, vcc_lo, 0, v37, vcc_lo
	v_add_co_u32 v5, vcc_lo, 0x16000, v36
	v_add_co_ci_u32_e32 v6, vcc_lo, 0, v37, vcc_lo
	v_lshlrev_b32_e32 v96, 16, v4
	s_waitcnt vmcnt(8)
	v_lshlrev_b32_e32 v102, 16, v54
	v_and_b32_e32 v95, 0xffff0000, v3
	s_waitcnt vmcnt(4)
	v_lshlrev_b32_e32 v106, 16, v70
	v_and_b32_e32 v97, 0xffff0000, v4
	v_and_b32_e32 v110, 0xffff0000, v38
	;; [unrolled: 1-line block ×3, first 2 shown]
	v_lshlrev_b32_e32 v123, 16, v40
	v_and_b32_e32 v124, 0xffff0000, v40
	v_and_b32_e32 v126, 0xffff0000, v41
	s_waitcnt vmcnt(0)
	v_lshlrev_b32_e32 v150, 16, v86
	v_lshlrev_b32_e32 v111, 16, v39
	;; [unrolled: 1-line block ×3, first 2 shown]
	s_clause 0x1
	global_load_b128 v[1:4], v[1:2], off
	global_load_b128 v[38:41], v[5:6], off offset:2048
	s_waitcnt vmcnt(1)
	v_lshlrev_b32_e32 v154, 16, v1
	v_and_b32_e32 v155, 0xffff0000, v1
	v_add_co_u32 v1, vcc_lo, 0x18000, v36
	v_lshlrev_b32_e32 v156, 16, v2
	v_and_b32_e32 v157, 0xffff0000, v2
	v_add_co_ci_u32_e32 v2, vcc_lo, 0, v37, vcc_lo
	v_add_co_u32 v5, vcc_lo, 0x19000, v36
	v_add_co_ci_u32_e32 v6, vcc_lo, 0, v37, vcc_lo
	v_lshlrev_b32_e32 v158, 16, v3
	v_and_b32_e32 v159, 0xffff0000, v3
	v_lshlrev_b32_e32 v160, 16, v4
	s_waitcnt vmcnt(0)
	v_lshlrev_b32_e32 v162, 16, v38
	v_and_b32_e32 v163, 0xffff0000, v38
	v_lshlrev_b32_e32 v164, 16, v39
	v_and_b32_e32 v165, 0xffff0000, v39
	;; [unrolled: 2-line block ×3, first 2 shown]
	v_and_b32_e32 v161, 0xffff0000, v4
	v_lshlrev_b32_e32 v168, 16, v41
	v_and_b32_e32 v169, 0xffff0000, v41
	s_clause 0x1
	global_load_b128 v[1:4], v[1:2], off
	global_load_b128 v[38:41], v[5:6], off offset:2048
	s_waitcnt vmcnt(1)
	v_and_b32_e32 v171, 0xffff0000, v1
	v_lshlrev_b32_e32 v174, 16, v3
	v_lshlrev_b32_e32 v170, 16, v1
	v_add_co_u32 v1, vcc_lo, 0x1b000, v36
	v_lshlrev_b32_e32 v172, 16, v2
	v_and_b32_e32 v173, 0xffff0000, v2
	v_add_co_ci_u32_e32 v2, vcc_lo, 0, v37, vcc_lo
	v_add_co_u32 v5, vcc_lo, 0x1c000, v36
	v_add_co_ci_u32_e32 v6, vcc_lo, 0, v37, vcc_lo
	v_and_b32_e32 v175, 0xffff0000, v3
	v_lshlrev_b32_e32 v176, 16, v4
	v_and_b32_e32 v177, 0xffff0000, v4
	s_waitcnt vmcnt(0)
	v_lshlrev_b32_e32 v178, 16, v38
	v_and_b32_e32 v179, 0xffff0000, v38
	v_lshlrev_b32_e32 v180, 16, v39
	v_and_b32_e32 v181, 0xffff0000, v39
	v_lshlrev_b32_e32 v182, 16, v40
	v_and_b32_e32 v183, 0xffff0000, v40
	v_lshlrev_b32_e32 v184, 16, v41
	v_and_b32_e32 v185, 0xffff0000, v41
	s_clause 0x1
	global_load_b128 v[1:4], v[1:2], off
	global_load_b128 v[38:41], v[5:6], off offset:2048
	s_waitcnt vmcnt(1)
	v_lshlrev_b32_e32 v186, 16, v1
	v_and_b32_e32 v187, 0xffff0000, v1
	v_add_co_u32 v1, vcc_lo, 0x1e000, v36
	v_lshlrev_b32_e32 v188, 16, v2
	v_and_b32_e32 v189, 0xffff0000, v2
	v_add_co_ci_u32_e32 v2, vcc_lo, 0, v37, vcc_lo
	v_add_co_u32 v5, vcc_lo, 0x1f000, v36
	v_add_co_ci_u32_e32 v6, vcc_lo, 0, v37, vcc_lo
	v_lshlrev_b32_e32 v190, 16, v3
	v_and_b32_e32 v191, 0xffff0000, v3
	v_lshlrev_b32_e32 v192, 16, v4
	v_and_b32_e32 v193, 0xffff0000, v4
	s_waitcnt vmcnt(0)
	v_lshlrev_b32_e32 v194, 16, v38
	v_and_b32_e32 v195, 0xffff0000, v38
	v_lshlrev_b32_e32 v196, 16, v39
	v_and_b32_e32 v197, 0xffff0000, v39
	;; [unrolled: 2-line block ×4, first 2 shown]
	s_clause 0x1
	global_load_b128 v[1:4], v[1:2], off
	global_load_b128 v[38:41], v[5:6], off offset:2048
	s_waitcnt vmcnt(1)
	v_lshlrev_b32_e32 v202, 16, v1
	v_and_b32_e32 v203, 0xffff0000, v1
	v_add_co_u32 v1, vcc_lo, 0x21000, v36
	v_lshlrev_b32_e32 v204, 16, v2
	v_and_b32_e32 v205, 0xffff0000, v2
	v_add_co_ci_u32_e32 v2, vcc_lo, 0, v37, vcc_lo
	v_add_co_u32 v5, vcc_lo, 0x22000, v36
	v_add_co_ci_u32_e32 v6, vcc_lo, 0, v37, vcc_lo
	v_lshlrev_b32_e32 v206, 16, v3
	v_lshlrev_b32_e32 v208, 16, v4
	v_and_b32_e32 v209, 0xffff0000, v4
	s_waitcnt vmcnt(0)
	v_lshlrev_b32_e32 v210, 16, v38
	v_and_b32_e32 v211, 0xffff0000, v38
	v_lshlrev_b32_e32 v212, 16, v39
	v_and_b32_e32 v213, 0xffff0000, v39
	;; [unrolled: 2-line block ×4, first 2 shown]
	v_and_b32_e32 v217, 0xffff0000, v41
	s_clause 0x1
	global_load_b128 v[1:4], v[1:2], off
	global_load_b128 v[38:41], v[5:6], off offset:2048
	s_waitcnt vmcnt(1)
	v_lshlrev_b32_e32 v5, 16, v1
	v_and_b32_e32 v6, 0xffff0000, v1
	v_add_co_u32 v1, vcc_lo, 0x24000, v36
	v_lshlrev_b32_e32 v218, 16, v2
	v_and_b32_e32 v219, 0xffff0000, v2
	v_add_co_ci_u32_e32 v2, vcc_lo, 0, v37, vcc_lo
	v_lshlrev_b32_e32 v220, 16, v3
	v_and_b32_e32 v221, 0xffff0000, v3
	v_lshlrev_b32_e32 v222, 16, v4
	v_and_b32_e32 v223, 0xffff0000, v4
	global_load_b128 v[1:4], v[1:2], off
	s_waitcnt vmcnt(1)
	v_lshlrev_b32_e32 v224, 16, v38
	v_and_b32_e32 v225, 0xffff0000, v38
	s_waitcnt vmcnt(0)
	v_lshlrev_b32_e32 v229, 16, v1
	v_lshlrev_b32_e32 v231, 16, v2
	v_and_b32_e32 v232, 0xffff0000, v2
	v_lshlrev_b32_e32 v233, 16, v3
	v_and_b32_e32 v234, 0xffff0000, v3
	;; [unrolled: 2-line block ×3, first 2 shown]
	v_and_b32_e32 v230, 0xffff0000, v1
	s_clause 0x1
	global_load_b128 v[1:4], v35, s[0:1]
	global_load_b128 v[35:38], v35, s[0:1] offset:16
	v_lshlrev_b32_e32 v103, 16, v58
	v_and_b32_e32 v46, 0xffff0000, v46
	v_lshlrev_b32_e32 v113, 16, v47
	v_lshlrev_b32_e32 v116, 16, v59
	;; [unrolled: 1-line block ×6, first 2 shown]
	v_and_b32_e32 v39, 0xffff0000, v39
	v_lshlrev_b32_e32 v227, 16, v40
	v_and_b32_e32 v40, 0xffff0000, v40
	v_lshlrev_b32_e32 v119, 16, v71
	v_lshlrev_b32_e32 v228, 16, v41
	s_waitcnt vmcnt(1)
	v_dual_fmac_f32 v8, v1, v224 :: v_dual_and_b32 v41, 0xffff0000, v41
	v_dual_fmac_f32 v25, v1, v103 :: v_dual_lshlrev_b32 v104, 16, v62
	v_lshlrev_b32_e32 v99, 16, v42
	v_fmac_f32_e32 v7, v1, v229
	v_lshlrev_b32_e32 v130, 16, v49
	s_delay_alu instid0(VALU_DEP_4) | instskip(SKIP_3) | instid1(VALU_DEP_3)
	v_fmac_f32_e32 v24, v1, v104
	v_fmac_f32_e32 v13, v1, v186
	;; [unrolled: 1-line block ×3, first 2 shown]
	v_dual_fmac_f32 v7, v2, v230 :: v_dual_fmac_f32 v28, v1, v100
	v_dual_fmac_f32 v13, v2, v187 :: v_dual_and_b32 v62, 0xffff0000, v62
	v_lshlrev_b32_e32 v121, 16, v79
	s_delay_alu instid0(VALU_DEP_3) | instskip(NEXT) | instid1(VALU_DEP_3)
	v_dual_fmac_f32 v28, v2, v46 :: v_dual_and_b32 v47, 0xffff0000, v47
	v_fmac_f32_e32 v24, v2, v62
	v_dual_fmac_f32 v16, v1, v162 :: v_dual_and_b32 v67, 0xffff0000, v67
	v_fmac_f32_e32 v7, v3, v231
	s_delay_alu instid0(VALU_DEP_4) | instskip(SKIP_2) | instid1(VALU_DEP_4)
	v_dual_fmac_f32 v28, v3, v113 :: v_dual_lshlrev_b32 v135, 16, v60
	v_and_b32_e32 v60, 0xffff0000, v60
	v_lshlrev_b32_e32 v105, 16, v66
	v_fmac_f32_e32 v7, v4, v232
	v_dual_fmac_f32 v8, v2, v225 :: v_dual_and_b32 v63, 0xffff0000, v63
	v_dual_fmac_f32 v13, v3, v188 :: v_dual_lshlrev_b32 v138, 16, v65
	s_waitcnt vmcnt(0)
	s_delay_alu instid0(VALU_DEP_3) | instskip(SKIP_3) | instid1(VALU_DEP_4)
	v_fmac_f32_e32 v7, v35, v233
	v_fmac_f32_e32 v15, v1, v170
	v_and_b32_e32 v58, 0xffff0000, v58
	v_dual_fmac_f32 v14, v1, v178 :: v_dual_lshlrev_b32 v115, 16, v55
	v_fmac_f32_e32 v7, v36, v234
	v_fmac_f32_e32 v11, v1, v202
	v_and_b32_e32 v66, 0xffff0000, v66
	s_delay_alu instid0(VALU_DEP_4) | instskip(SKIP_1) | instid1(VALU_DEP_4)
	v_dual_fmac_f32 v14, v2, v179 :: v_dual_lshlrev_b32 v107, 16, v74
	v_dual_fmac_f32 v8, v3, v226 :: v_dual_lshlrev_b32 v131, 16, v52
	;; [unrolled: 1-line block ×3, first 2 shown]
	v_fmac_f32_e32 v31, v1, v90
	v_fmac_f32_e32 v15, v2, v171
	;; [unrolled: 1-line block ×3, first 2 shown]
	s_delay_alu instid0(VALU_DEP_4)
	v_dual_fmac_f32 v11, v3, v204 :: v_dual_and_b32 v86, 0xffff0000, v86
	v_dual_fmac_f32 v13, v4, v189 :: v_dual_fmac_f32 v18, v1, v150
	v_dual_fmac_f32 v21, v1, v107 :: v_dual_lshlrev_b32 v108, 16, v78
	v_lshlrev_b32_e32 v101, 16, v50
	v_dual_fmac_f32 v25, v3, v116 :: v_dual_and_b32 v74, 0xffff0000, v74
	v_dual_fmac_f32 v30, v1, v98 :: v_dual_fmac_f32 v31, v2, v91
	v_fmac_f32_e32 v12, v1, v194
	v_lshlrev_b32_e32 v109, 16, v82
	v_fmac_f32_e32 v11, v4, v205
	v_dual_fmac_f32 v18, v2, v86 :: v_dual_and_b32 v59, 0xffff0000, v59
	v_lshlrev_b32_e32 v142, 16, v73
	v_dual_fmac_f32 v8, v4, v39 :: v_dual_and_b32 v73, 0xffff0000, v73
	v_dual_fmac_f32 v9, v1, v5 :: v_dual_and_b32 v42, 0xffff0000, v42
	v_dual_fmac_f32 v17, v1, v154 :: v_dual_lshlrev_b32 v112, 16, v43
	v_fmac_f32_e32 v31, v3, v92
	v_fmac_f32_e32 v20, v1, v108
	v_fmac_f32_e32 v27, v1, v101
	v_fmac_f32_e32 v26, v1, v102
	v_dual_fmac_f32 v12, v2, v195 :: v_dual_fmac_f32 v19, v1, v109
	v_fmac_f32_e32 v30, v2, v110
	v_fmac_f32_e32 v8, v35, v227
	v_dual_fmac_f32 v17, v2, v155 :: v_dual_and_b32 v54, 0xffff0000, v54
	v_dual_fmac_f32 v31, v4, v93 :: v_dual_and_b32 v50, 0xffff0000, v50
	v_dual_fmac_f32 v29, v2, v42 :: v_dual_lshlrev_b32 v120, 16, v75
	s_delay_alu instid0(VALU_DEP_3)
	v_dual_fmac_f32 v26, v2, v54 :: v_dual_and_b32 v43, 0xffff0000, v43
	v_lshlrev_b32_e32 v127, 16, v44
	v_dual_fmac_f32 v21, v2, v74 :: v_dual_and_b32 v44, 0xffff0000, v44
	v_and_b32_e32 v78, 0xffff0000, v78
	v_fmac_f32_e32 v30, v3, v111
	v_dual_fmac_f32 v24, v3, v117 :: v_dual_and_b32 v71, 0xffff0000, v71
	v_lshlrev_b32_e32 v137, 16, v64
	v_dual_fmac_f32 v31, v35, v94 :: v_dual_and_b32 v64, 0xffff0000, v64
	v_fmac_f32_e32 v10, v1, v210
	v_fmac_f32_e32 v27, v2, v50
	v_dual_fmac_f32 v30, v4, v122 :: v_dual_lshlrev_b32 v133, 16, v56
	v_fmac_f32_e32 v21, v3, v120
	v_dual_fmac_f32 v20, v2, v78 :: v_dual_and_b32 v55, 0xffff0000, v55
	v_dual_fmac_f32 v8, v36, v40 :: v_dual_and_b32 v75, 0xffff0000, v75
	v_dual_fmac_f32 v31, v36, v95 :: v_dual_lshlrev_b32 v146, 16, v81
	s_delay_alu instid0(VALU_DEP_3) | instskip(NEXT) | instid1(VALU_DEP_3)
	v_fmac_f32_e32 v20, v3, v121
	v_dual_fmac_f32 v21, v4, v75 :: v_dual_lshlrev_b32 v144, 16, v77
	s_delay_alu instid0(VALU_DEP_4) | instskip(SKIP_4) | instid1(VALU_DEP_3)
	v_fmac_f32_e32 v8, v37, v228
	v_dual_fmac_f32 v10, v2, v211 :: v_dual_and_b32 v77, 0xffff0000, v77
	v_dual_fmac_f32 v30, v35, v123 :: v_dual_fmac_f32 v31, v37, v96
	v_fmac_f32_e32 v26, v3, v115
	v_lshlrev_b32_e32 v136, 16, v61
	v_dual_fmac_f32 v30, v36, v124 :: v_dual_and_b32 v61, 0xffff0000, v61
	v_fmac_f32_e32 v16, v2, v163
	s_delay_alu instid0(VALU_DEP_4) | instskip(SKIP_3) | instid1(VALU_DEP_4)
	v_dual_fmac_f32 v26, v4, v55 :: v_dual_fmac_f32 v23, v1, v105
	v_dual_fmac_f32 v22, v1, v106 :: v_dual_fmac_f32 v31, v38, v97
	v_dual_fmac_f32 v14, v3, v180 :: v_dual_and_b32 v49, 0xffff0000, v49
	v_lshlrev_b32_e32 v143, 16, v76
	v_dual_fmac_f32 v23, v2, v66 :: v_dual_lshlrev_b32 v132, 16, v53
	v_dual_fmac_f32 v26, v35, v133 :: v_dual_lshlrev_b32 v151, 16, v87
	s_delay_alu instid0(VALU_DEP_2) | instskip(NEXT) | instid1(VALU_DEP_4)
	v_dual_fmac_f32 v14, v4, v181 :: v_dual_fmac_f32 v23, v3, v118
	v_dual_fmac_f32 v21, v35, v143 :: v_dual_and_b32 v76, 0xffff0000, v76
	s_delay_alu instid0(VALU_DEP_3) | instskip(NEXT) | instid1(VALU_DEP_3)
	v_dual_fmac_f32 v18, v3, v151 :: v_dual_lshlrev_b32 v129, 16, v48
	v_fmac_f32_e32 v23, v4, v67
	v_fmac_f32_e32 v25, v4, v59
	s_delay_alu instid0(VALU_DEP_4) | instskip(SKIP_2) | instid1(VALU_DEP_4)
	v_fmac_f32_e32 v21, v36, v76
	v_fmac_f32_e32 v28, v4, v47
	v_dual_fmac_f32 v17, v3, v156 :: v_dual_lshlrev_b32 v134, 16, v57
	v_fmac_f32_e32 v25, v35, v135
	s_delay_alu instid0(VALU_DEP_4) | instskip(SKIP_2) | instid1(VALU_DEP_4)
	v_fmac_f32_e32 v21, v37, v144
	v_dual_fmac_f32 v9, v2, v6 :: v_dual_and_b32 v48, 0xffff0000, v48
	v_and_b32_e32 v56, 0xffff0000, v56
	v_fmac_f32_e32 v25, v36, v60
	v_dual_fmac_f32 v16, v3, v164 :: v_dual_and_b32 v79, 0xffff0000, v79
	s_delay_alu instid0(VALU_DEP_4) | instskip(NEXT) | instid1(VALU_DEP_4)
	v_dual_fmac_f32 v9, v3, v218 :: v_dual_lshlrev_b32 v152, 16, v88
	v_fmac_f32_e32 v26, v36, v56
	v_dual_fmac_f32 v29, v3, v112 :: v_dual_and_b32 v70, 0xffff0000, v70
	s_delay_alu instid0(VALU_DEP_3) | instskip(SKIP_1) | instid1(VALU_DEP_4)
	v_fmac_f32_e32 v9, v4, v219
	v_dual_fmac_f32 v12, v3, v196 :: v_dual_and_b32 v53, 0xffff0000, v53
	v_dual_fmac_f32 v26, v37, v134 :: v_dual_lshlrev_b32 v139, 16, v68
	s_delay_alu instid0(VALU_DEP_3)
	v_dual_fmac_f32 v20, v4, v79 :: v_dual_fmac_f32 v9, v35, v220
	v_fmac_f32_e32 v15, v3, v172
	v_fmac_f32_e32 v25, v37, v136
	v_dual_fmac_f32 v10, v3, v212 :: v_dual_and_b32 v57, 0xffff0000, v57
	v_dual_fmac_f32 v12, v4, v197 :: v_dual_lshlrev_b32 v145, 16, v80
	v_dual_fmac_f32 v22, v2, v70 :: v_dual_and_b32 v51, 0xffff0000, v51
	s_delay_alu instid0(VALU_DEP_3) | instskip(NEXT) | instid1(VALU_DEP_4)
	v_dual_fmac_f32 v26, v38, v57 :: v_dual_lshlrev_b32 v147, 16, v83
	v_fmac_f32_e32 v10, v4, v213
	v_and_b32_e32 v82, 0xffff0000, v82
	v_lshlrev_b32_e32 v128, 16, v45
	v_dual_fmac_f32 v28, v35, v129 :: v_dual_and_b32 v83, 0xffff0000, v83
	s_delay_alu instid0(VALU_DEP_3) | instskip(SKIP_3) | instid1(VALU_DEP_4)
	v_dual_fmac_f32 v20, v35, v145 :: v_dual_fmac_f32 v19, v2, v82
	v_dual_fmac_f32 v22, v3, v119 :: v_dual_and_b32 v45, 0xffff0000, v45
	v_fmac_f32_e32 v24, v4, v63
	v_and_b32_e32 v87, 0xffff0000, v87
	v_dual_fmac_f32 v19, v3, v147 :: v_dual_and_b32 v80, 0xffff0000, v80
	s_delay_alu instid0(VALU_DEP_4) | instskip(SKIP_1) | instid1(VALU_DEP_3)
	v_dual_fmac_f32 v22, v4, v71 :: v_dual_and_b32 v65, 0xffff0000, v65
	v_dual_fmac_f32 v29, v4, v43 :: v_dual_and_b32 v68, 0xffff0000, v68
	v_fmac_f32_e32 v19, v4, v83
	s_delay_alu instid0(VALU_DEP_4)
	v_fmac_f32_e32 v20, v36, v80
	v_fmac_f32_e32 v24, v35, v137
	v_dual_fmac_f32 v18, v4, v87 :: v_dual_and_b32 v69, 0xffff0000, v69
	v_and_b32_e32 v81, 0xffff0000, v81
	v_dual_fmac_f32 v23, v35, v139 :: v_dual_fmac_f32 v28, v36, v48
	v_dual_fmac_f32 v16, v4, v165 :: v_dual_lshlrev_b32 v141, 16, v72
	v_fmac_f32_e32 v20, v37, v146
	v_dual_fmac_f32 v27, v3, v114 :: v_dual_and_b32 v52, 0xffff0000, v52
	v_and_b32_e32 v72, 0xffff0000, v72
	v_dual_fmac_f32 v29, v35, v127 :: v_dual_and_b32 v88, 0xffff0000, v88
	v_fmac_f32_e32 v22, v35, v141
	v_dual_fmac_f32 v17, v4, v157 :: v_dual_lshlrev_b32 v148, 16, v84
	v_fmac_f32_e32 v18, v35, v152
	v_fmac_f32_e32 v24, v36, v64
	;; [unrolled: 1-line block ×3, first 2 shown]
	v_dual_fmac_f32 v13, v35, v190 :: v_dual_fmac_f32 v20, v38, v81
	v_fmac_f32_e32 v9, v36, v221
	v_fmac_f32_e32 v27, v4, v51
	v_fmac_f32_e32 v19, v35, v148
	v_fmac_f32_e32 v17, v35, v158
	v_fmac_f32_e32 v29, v36, v44
	v_fmac_f32_e32 v22, v36, v72
	v_dual_fmac_f32 v15, v4, v173 :: v_dual_and_b32 v84, 0xffff0000, v84
	v_dual_fmac_f32 v24, v37, v138 :: v_dual_fmac_f32 v13, v36, v191
	v_dual_fmac_f32 v12, v35, v198 :: v_dual_lshlrev_b32 v153, 16, v89
	v_fmac_f32_e32 v7, v37, v235
	v_fmac_f32_e32 v9, v37, v222
	v_dual_fmac_f32 v10, v35, v214 :: v_dual_and_b32 v89, 0xffff0000, v89
	v_dual_fmac_f32 v16, v35, v166 :: v_dual_lshlrev_b32 v149, 16, v85
	v_fmac_f32_e32 v27, v35, v131
	v_fmac_f32_e32 v15, v35, v174
	;; [unrolled: 1-line block ×3, first 2 shown]
	v_dual_fmac_f32 v14, v35, v182 :: v_dual_and_b32 v85, 0xffff0000, v85
	v_fmac_f32_e32 v30, v37, v125
	v_fmac_f32_e32 v29, v37, v128
	v_dual_fmac_f32 v11, v35, v206 :: v_dual_fmac_f32 v24, v38, v65
	v_fmac_f32_e32 v10, v36, v215
	v_fmac_f32_e32 v27, v36, v52
	;; [unrolled: 1-line block ×6, first 2 shown]
	v_dual_fmac_f32 v16, v36, v167 :: v_dual_fmac_f32 v23, v37, v140
	v_dual_fmac_f32 v10, v37, v216 :: v_dual_fmac_f32 v11, v36, v207
	v_fmac_f32_e32 v30, v38, v126
	v_fmac_f32_e32 v12, v36, v199
	v_fmac_f32_e32 v28, v37, v130
	v_fmac_f32_e32 v27, v37, v132
	v_fmac_f32_e32 v22, v37, v142
	v_fmac_f32_e32 v19, v37, v149
	v_fmac_f32_e32 v18, v37, v153
	v_fmac_f32_e32 v17, v37, v160
	v_fmac_f32_e32 v16, v37, v168
	v_fmac_f32_e32 v15, v37, v176
	v_fmac_f32_e32 v14, v37, v184
	v_fmac_f32_e32 v13, v37, v192
	v_fmac_f32_e32 v12, v37, v200
	v_fmac_f32_e32 v11, v37, v208
	v_fmac_f32_e32 v29, v38, v45
	v_fmac_f32_e32 v28, v38, v49
	v_fmac_f32_e32 v27, v38, v53
	v_fmac_f32_e32 v25, v38, v61
	v_fmac_f32_e32 v23, v38, v69
	v_fmac_f32_e32 v22, v38, v73
	v_fmac_f32_e32 v21, v38, v77
	v_fmac_f32_e32 v19, v38, v85
	v_fmac_f32_e32 v18, v38, v89
	v_fmac_f32_e32 v17, v38, v161
	v_fmac_f32_e32 v16, v38, v169
	v_fmac_f32_e32 v15, v38, v177
	v_fmac_f32_e32 v14, v38, v185
	v_fmac_f32_e32 v13, v38, v193
	v_fmac_f32_e32 v12, v38, v201
	v_fmac_f32_e32 v11, v38, v209
	v_fmac_f32_e32 v10, v38, v217
	v_fmac_f32_e32 v9, v38, v223
	v_fmac_f32_e32 v8, v38, v41
	v_fmac_f32_e32 v7, v38, v236
	s_cbranch_scc0 .LBB56_1
; %bb.2:
	v_mbcnt_lo_u32_b32 v5, -1, 0
	v_lshrrev_b32_e32 v33, 5, v0
	s_delay_alu instid0(VALU_DEP_2) | instskip(SKIP_1) | instid1(VALU_DEP_2)
	v_xor_b32_e32 v1, 16, v5
	v_xor_b32_e32 v2, 8, v5
	v_cmp_gt_i32_e32 vcc_lo, 32, v1
	v_cndmask_b32_e32 v1, v5, v1, vcc_lo
	s_delay_alu instid0(VALU_DEP_3) | instskip(SKIP_1) | instid1(VALU_DEP_1)
	v_cmp_gt_i32_e32 vcc_lo, 32, v2
	v_cndmask_b32_e32 v2, v5, v2, vcc_lo
	v_lshlrev_b32_e32 v2, 2, v2
	s_delay_alu instid0(VALU_DEP_4)
	v_lshlrev_b32_e32 v1, 2, v1
	ds_bpermute_b32 v3, v1, v31
	s_waitcnt lgkmcnt(0)
	v_add_f32_e32 v4, v31, v3
	v_xor_b32_e32 v3, 4, v5
	ds_bpermute_b32 v6, v2, v4
	v_cmp_gt_i32_e32 vcc_lo, 32, v3
	s_waitcnt lgkmcnt(0)
	v_dual_cndmask_b32 v3, v5, v3 :: v_dual_add_f32 v6, v4, v6
	s_delay_alu instid0(VALU_DEP_1)
	v_lshlrev_b32_e32 v3, 2, v3
	v_xor_b32_e32 v4, 2, v5
	ds_bpermute_b32 v31, v3, v6
	v_cmp_gt_i32_e32 vcc_lo, 32, v4
	s_waitcnt lgkmcnt(0)
	v_dual_cndmask_b32 v4, v5, v4 :: v_dual_add_f32 v31, v6, v31
	v_xor_b32_e32 v6, 1, v5
	s_delay_alu instid0(VALU_DEP_1) | instskip(NEXT) | instid1(VALU_DEP_3)
	v_cmp_gt_i32_e32 vcc_lo, 32, v6
	v_dual_cndmask_b32 v5, v5, v6 :: v_dual_lshlrev_b32 v4, 2, v4
	ds_bpermute_b32 v32, v4, v31
	v_lshlrev_b32_e32 v6, 2, v5
	v_and_b32_e32 v5, 31, v0
	s_delay_alu instid0(VALU_DEP_1)
	v_cmp_eq_u32_e32 vcc_lo, 0, v5
	v_lshlrev_b32_e32 v5, 2, v33
	s_waitcnt lgkmcnt(0)
	v_add_f32_e32 v31, v31, v32
	ds_bpermute_b32 v32, v6, v31
	s_and_saveexec_b32 s0, vcc_lo
	s_cbranch_execz .LBB56_4
; %bb.3:
	s_waitcnt lgkmcnt(0)
	v_add_f32_e32 v31, v31, v32
	ds_store_b32 v5, v31
.LBB56_4:
	s_or_b32 exec_lo, exec_lo, s0
	ds_bpermute_b32 v31, v1, v30
	s_waitcnt lgkmcnt(0)
	v_add_f32_e32 v30, v30, v31
	ds_bpermute_b32 v31, v2, v30
	s_waitcnt lgkmcnt(0)
	v_add_f32_e32 v30, v30, v31
	ds_bpermute_b32 v31, v3, v30
	s_waitcnt lgkmcnt(0)
	v_add_f32_e32 v30, v30, v31
	ds_bpermute_b32 v31, v4, v30
	s_waitcnt lgkmcnt(0)
	v_add_f32_e32 v30, v30, v31
	ds_bpermute_b32 v31, v6, v30
	s_and_saveexec_b32 s0, vcc_lo
	s_cbranch_execz .LBB56_6
; %bb.5:
	s_waitcnt lgkmcnt(0)
	v_add_f32_e32 v30, v30, v31
	ds_store_b32 v5, v30 offset:16
.LBB56_6:
	s_or_b32 exec_lo, exec_lo, s0
	ds_bpermute_b32 v30, v1, v29
	s_waitcnt lgkmcnt(0)
	v_add_f32_e32 v29, v29, v30
	ds_bpermute_b32 v30, v2, v29
	s_waitcnt lgkmcnt(0)
	v_add_f32_e32 v29, v29, v30
	ds_bpermute_b32 v30, v3, v29
	s_waitcnt lgkmcnt(0)
	v_add_f32_e32 v29, v29, v30
	ds_bpermute_b32 v30, v4, v29
	s_waitcnt lgkmcnt(0)
	v_add_f32_e32 v29, v29, v30
	ds_bpermute_b32 v30, v6, v29
	s_and_saveexec_b32 s0, vcc_lo
	s_cbranch_execz .LBB56_8
; %bb.7:
	s_waitcnt lgkmcnt(0)
	v_add_f32_e32 v29, v29, v30
	ds_store_b32 v5, v29 offset:32
.LBB56_8:
	;; [unrolled: 21-line block ×24, first 2 shown]
	s_or_b32 exec_lo, exec_lo, s0
	s_waitcnt lgkmcnt(0)
	s_barrier
	buffer_gl0_inv
	s_mov_b32 s0, exec_lo
	v_cmpx_eq_u32_e32 0, v0
	s_cbranch_execz .LBB56_54
; %bb.53:
	v_mov_b32_e32 v44, 0
	s_ashr_i32 s3, s2, 31
	ds_load_b128 v[0:3], v44
	ds_load_b128 v[4:7], v44 offset:16
	ds_load_b128 v[8:11], v44 offset:32
	;; [unrolled: 1-line block ×7, first 2 shown]
	s_lshl_b64 s[0:1], s[2:3], 2
	s_delay_alu instid0(SALU_CYCLE_1)
	s_add_u32 s0, s4, s0
	s_addc_u32 s1, s5, s1
	s_waitcnt lgkmcnt(4)
	v_add_f32_e32 v12, 0, v12
	v_add_f32_e32 v0, 0, v0
	s_waitcnt lgkmcnt(2)
	v_add_f32_e32 v20, 0, v20
	v_add_f32_e32 v4, 0, v4
	;; [unrolled: 3-line block ×3, first 2 shown]
	s_delay_alu instid0(VALU_DEP_3)
	v_add_f32_e32 v1, v4, v5
	ds_load_b128 v[32:35], v44 offset:128
	ds_load_b128 v[36:39], v44 offset:144
	v_dual_add_f32 v8, 0, v8 :: v_dual_add_f32 v5, v12, v13
	v_add_f32_e32 v0, v0, v2
	v_add_f32_e32 v1, v1, v6
	ds_load_b128 v[40:43], v44 offset:160
	v_add_f32_e32 v4, v8, v9
	v_add_f32_e32 v12, v24, v25
	s_waitcnt lgkmcnt(3)
	v_add_f32_e32 v28, 0, v28
	v_add_f32_e32 v16, 0, v16
	v_add_f32_e32 v2, v4, v10
	v_add_f32_e32 v4, v5, v14
	s_delay_alu instid0(VALU_DEP_2) | instskip(NEXT) | instid1(VALU_DEP_2)
	v_add_f32_e32 v24, v2, v11
	v_add_f32_e32 v25, v4, v15
	;; [unrolled: 1-line block ×7, first 2 shown]
	s_waitcnt lgkmcnt(2)
	v_dual_add_f32 v20, v0, v3 :: v_dual_add_f32 v3, 0, v32
	v_add_f32_e32 v26, v1, v27
	v_add_f32_e32 v4, v2, v30
	s_waitcnt lgkmcnt(1)
	v_dual_add_f32 v0, v9, v22 :: v_dual_add_f32 v9, 0, v36
	s_delay_alu instid0(VALU_DEP_2) | instskip(NEXT) | instid1(VALU_DEP_2)
	v_add_f32_e32 v27, v4, v31
	v_add_f32_e32 v23, v0, v23
	s_delay_alu instid0(VALU_DEP_3)
	v_add_f32_e32 v29, v9, v37
	v_mov_b32_e32 v37, 0x2000
	v_dual_add_f32 v5, v8, v18 :: v_dual_add_f32 v8, v3, v33
	ds_load_b128 v[0:3], v44 offset:176
	s_waitcnt lgkmcnt(1)
	v_dual_add_f32 v10, 0, v40 :: v_dual_add_f32 v45, v5, v19
	ds_load_b128 v[4:7], v44 offset:192
	v_add_f32_e32 v28, v8, v34
	v_add_f32_e32 v30, v10, v41
	ds_load_b128 v[8:11], v44 offset:208
	ds_load_b128 v[12:15], v44 offset:224
	;; [unrolled: 1-line block ×3, first 2 shown]
	s_waitcnt lgkmcnt(4)
	v_add_f32_e32 v0, 0, v0
	s_waitcnt lgkmcnt(3)
	v_add_f32_e32 v4, 0, v4
	s_delay_alu instid0(VALU_DEP_2) | instskip(SKIP_1) | instid1(VALU_DEP_2)
	v_add_f32_e32 v0, v0, v1
	s_waitcnt lgkmcnt(2)
	v_dual_add_f32 v1, v4, v5 :: v_dual_add_f32 v4, 0, v8
	s_waitcnt lgkmcnt(1)
	v_dual_add_f32 v5, 0, v12 :: v_dual_mov_b32 v22, 0x1000
	v_add_f32_e32 v0, v0, v2
	s_delay_alu instid0(VALU_DEP_3) | instskip(SKIP_1) | instid1(VALU_DEP_3)
	v_dual_add_f32 v1, v1, v6 :: v_dual_add_f32 v4, v4, v9
	s_waitcnt lgkmcnt(0)
	v_dual_add_f32 v5, v5, v13 :: v_dual_add_f32 v2, 0, v16
	s_delay_alu instid0(VALU_DEP_3) | instskip(NEXT) | instid1(VALU_DEP_3)
	v_add_f32_e32 v40, v0, v3
	v_add_f32_e32 v41, v1, v7
	;; [unrolled: 1-line block ×3, first 2 shown]
	s_clause 0x7
	global_store_b32 v44, v20, s[0:1]
	global_store_b32 v44, v21, s[0:1] offset:1024
	global_store_b32 v44, v24, s[0:1] offset:2048
	;; [unrolled: 1-line block ×3, first 2 shown]
	global_store_b32 v22, v45, s[0:1]
	global_store_b32 v22, v23, s[0:1] offset:1024
	global_store_b32 v22, v26, s[0:1] offset:2048
	;; [unrolled: 1-line block ×3, first 2 shown]
	ds_load_b128 v[20:23], v44 offset:256
	v_add_f32_e32 v24, v29, v38
	v_dual_add_f32 v25, v30, v42 :: v_dual_add_f32 v42, v1, v11
	v_add_f32_e32 v0, v2, v17
	v_add_f32_e32 v2, v5, v14
	s_delay_alu instid0(VALU_DEP_4) | instskip(NEXT) | instid1(VALU_DEP_3)
	v_add_f32_e32 v38, v24, v39
	v_dual_add_f32 v39, v25, v43 :: v_dual_add_f32 v0, v0, v18
	s_delay_alu instid0(VALU_DEP_3) | instskip(SKIP_2) | instid1(VALU_DEP_1)
	v_add_f32_e32 v43, v2, v15
	s_waitcnt lgkmcnt(0)
	v_dual_add_f32 v3, 0, v20 :: v_dual_mov_b32 v20, 0x3000
	v_dual_add_f32 v1, v3, v21 :: v_dual_add_f32 v36, v28, v35
	ds_load_b128 v[24:27], v44 offset:272
	ds_load_b128 v[28:31], v44 offset:288
	ds_load_b128 v[32:35], v44 offset:304
	v_dual_add_f32 v21, v0, v19 :: v_dual_add_f32 v22, v1, v22
	ds_load_b128 v[0:3], v44 offset:320
	s_waitcnt lgkmcnt(3)
	v_add_f32_e32 v4, 0, v24
	s_waitcnt lgkmcnt(2)
	v_add_f32_e32 v5, 0, v28
	;; [unrolled: 2-line block ×3, first 2 shown]
	v_add_f32_e32 v24, v4, v25
	s_delay_alu instid0(VALU_DEP_3) | instskip(NEXT) | instid1(VALU_DEP_3)
	v_add_f32_e32 v25, v5, v29
	v_add_f32_e32 v28, v6, v33
	ds_load_b128 v[4:7], v44 offset:336
	ds_load_b128 v[8:11], v44 offset:352
	;; [unrolled: 1-line block ×4, first 2 shown]
	s_waitcnt lgkmcnt(4)
	v_add_f32_e32 v0, 0, v0
	s_delay_alu instid0(VALU_DEP_1) | instskip(NEXT) | instid1(VALU_DEP_1)
	v_add_f32_e32 v0, v0, v1
	v_add_f32_e32 v0, v0, v2
	s_waitcnt lgkmcnt(3)
	s_delay_alu instid0(VALU_DEP_1)
	v_dual_add_f32 v0, v0, v3 :: v_dual_add_f32 v1, 0, v4
	s_waitcnt lgkmcnt(2)
	v_add_f32_e32 v4, 0, v8
	s_waitcnt lgkmcnt(1)
	v_add_f32_e32 v8, 0, v12
	s_waitcnt lgkmcnt(0)
	v_dual_add_f32 v12, 0, v16 :: v_dual_add_f32 v1, v1, v5
	v_add_f32_e32 v2, v4, v9
	s_delay_alu instid0(VALU_DEP_3) | instskip(NEXT) | instid1(VALU_DEP_3)
	v_add_f32_e32 v4, v8, v13
	v_add_f32_e32 v5, v12, v17
	s_delay_alu instid0(VALU_DEP_4) | instskip(NEXT) | instid1(VALU_DEP_4)
	v_add_f32_e32 v1, v1, v6
	v_add_f32_e32 v2, v2, v10
	s_delay_alu instid0(VALU_DEP_4) | instskip(NEXT) | instid1(VALU_DEP_4)
	v_add_f32_e32 v3, v4, v14
	v_dual_add_f32 v4, v5, v18 :: v_dual_mov_b32 v5, 0x5000
	s_clause 0x7
	global_store_b32 v37, v36, s[0:1]
	global_store_b32 v37, v38, s[0:1] offset:1024
	global_store_b32 v37, v39, s[0:1] offset:2048
	;; [unrolled: 1-line block ×3, first 2 shown]
	global_store_b32 v20, v41, s[0:1]
	global_store_b32 v20, v42, s[0:1] offset:1024
	global_store_b32 v20, v43, s[0:1] offset:2048
	;; [unrolled: 1-line block ×3, first 2 shown]
	v_dual_add_f32 v21, v24, v26 :: v_dual_add_f32 v20, v22, v23
	v_add_f32_e32 v22, v25, v30
	v_dual_add_f32 v23, v28, v34 :: v_dual_mov_b32 v24, 0x4000
	s_delay_alu instid0(VALU_DEP_3) | instskip(SKIP_1) | instid1(VALU_DEP_4)
	v_add_f32_e32 v21, v21, v27
	v_add_f32_e32 v1, v1, v7
	v_add_f32_e32 v22, v22, v31
	s_delay_alu instid0(VALU_DEP_4)
	v_add_f32_e32 v23, v23, v35
	v_add_f32_e32 v2, v2, v11
	v_add_f32_e32 v3, v3, v15
	v_add_f32_e32 v4, v4, v19
	v_mov_b32_e32 v6, 0x6000
	s_clause 0x8
	global_store_b32 v24, v20, s[0:1]
	global_store_b32 v24, v21, s[0:1] offset:1024
	global_store_b32 v24, v22, s[0:1] offset:2048
	;; [unrolled: 1-line block ×3, first 2 shown]
	global_store_b32 v5, v0, s[0:1]
	global_store_b32 v5, v1, s[0:1] offset:1024
	global_store_b32 v5, v2, s[0:1] offset:2048
	;; [unrolled: 1-line block ×3, first 2 shown]
	global_store_b32 v6, v4, s[0:1]
.LBB56_54:
	s_nop 0
	s_sendmsg sendmsg(MSG_DEALLOC_VGPRS)
	s_endpgm
	.section	.rodata,"a",@progbits
	.p2align	6, 0x0
	.amdhsa_kernel _Z23fp32_router_gemm_kernelI14__hip_bfloat16Li128ELi25ELi256ELi3072EEvPfPKT_PKf
		.amdhsa_group_segment_fixed_size 400
		.amdhsa_private_segment_fixed_size 0
		.amdhsa_kernarg_size 24
		.amdhsa_user_sgpr_count 15
		.amdhsa_user_sgpr_dispatch_ptr 0
		.amdhsa_user_sgpr_queue_ptr 0
		.amdhsa_user_sgpr_kernarg_segment_ptr 1
		.amdhsa_user_sgpr_dispatch_id 0
		.amdhsa_user_sgpr_private_segment_size 0
		.amdhsa_wavefront_size32 1
		.amdhsa_uses_dynamic_stack 0
		.amdhsa_enable_private_segment 0
		.amdhsa_system_sgpr_workgroup_id_x 1
		.amdhsa_system_sgpr_workgroup_id_y 0
		.amdhsa_system_sgpr_workgroup_id_z 0
		.amdhsa_system_sgpr_workgroup_info 0
		.amdhsa_system_vgpr_workitem_id 0
		.amdhsa_next_free_vgpr 237
		.amdhsa_next_free_sgpr 16
		.amdhsa_reserve_vcc 1
		.amdhsa_float_round_mode_32 0
		.amdhsa_float_round_mode_16_64 0
		.amdhsa_float_denorm_mode_32 3
		.amdhsa_float_denorm_mode_16_64 3
		.amdhsa_dx10_clamp 1
		.amdhsa_ieee_mode 1
		.amdhsa_fp16_overflow 0
		.amdhsa_workgroup_processor_mode 1
		.amdhsa_memory_ordered 1
		.amdhsa_forward_progress 0
		.amdhsa_shared_vgpr_count 0
		.amdhsa_exception_fp_ieee_invalid_op 0
		.amdhsa_exception_fp_denorm_src 0
		.amdhsa_exception_fp_ieee_div_zero 0
		.amdhsa_exception_fp_ieee_overflow 0
		.amdhsa_exception_fp_ieee_underflow 0
		.amdhsa_exception_fp_ieee_inexact 0
		.amdhsa_exception_int_div_zero 0
	.end_amdhsa_kernel
	.section	.text._Z23fp32_router_gemm_kernelI14__hip_bfloat16Li128ELi25ELi256ELi3072EEvPfPKT_PKf,"axG",@progbits,_Z23fp32_router_gemm_kernelI14__hip_bfloat16Li128ELi25ELi256ELi3072EEvPfPKT_PKf,comdat
.Lfunc_end56:
	.size	_Z23fp32_router_gemm_kernelI14__hip_bfloat16Li128ELi25ELi256ELi3072EEvPfPKT_PKf, .Lfunc_end56-_Z23fp32_router_gemm_kernelI14__hip_bfloat16Li128ELi25ELi256ELi3072EEvPfPKT_PKf
                                        ; -- End function
	.section	.AMDGPU.csdata,"",@progbits
; Kernel info:
; codeLenInByte = 6748
; NumSgprs: 18
; NumVgprs: 237
; ScratchSize: 0
; MemoryBound: 0
; FloatMode: 240
; IeeeMode: 1
; LDSByteSize: 400 bytes/workgroup (compile time only)
; SGPRBlocks: 2
; VGPRBlocks: 29
; NumSGPRsForWavesPerEU: 18
; NumVGPRsForWavesPerEU: 237
; Occupancy: 6
; WaveLimiterHint : 1
; COMPUTE_PGM_RSRC2:SCRATCH_EN: 0
; COMPUTE_PGM_RSRC2:USER_SGPR: 15
; COMPUTE_PGM_RSRC2:TRAP_HANDLER: 0
; COMPUTE_PGM_RSRC2:TGID_X_EN: 1
; COMPUTE_PGM_RSRC2:TGID_Y_EN: 0
; COMPUTE_PGM_RSRC2:TGID_Z_EN: 0
; COMPUTE_PGM_RSRC2:TIDIG_COMP_CNT: 0
	.section	.text._Z23fp32_router_gemm_kernelI14__hip_bfloat16Li128ELi26ELi256ELi3072EEvPfPKT_PKf,"axG",@progbits,_Z23fp32_router_gemm_kernelI14__hip_bfloat16Li128ELi26ELi256ELi3072EEvPfPKT_PKf,comdat
	.protected	_Z23fp32_router_gemm_kernelI14__hip_bfloat16Li128ELi26ELi256ELi3072EEvPfPKT_PKf ; -- Begin function _Z23fp32_router_gemm_kernelI14__hip_bfloat16Li128ELi26ELi256ELi3072EEvPfPKT_PKf
	.globl	_Z23fp32_router_gemm_kernelI14__hip_bfloat16Li128ELi26ELi256ELi3072EEvPfPKT_PKf
	.p2align	8
	.type	_Z23fp32_router_gemm_kernelI14__hip_bfloat16Li128ELi26ELi256ELi3072EEvPfPKT_PKf,@function
_Z23fp32_router_gemm_kernelI14__hip_bfloat16Li128ELi26ELi256ELi3072EEvPfPKT_PKf: ; @_Z23fp32_router_gemm_kernelI14__hip_bfloat16Li128ELi26ELi256ELi3072EEvPfPKT_PKf
; %bb.0:
	s_clause 0x1
	s_load_b128 s[4:7], s[0:1], 0x0
	s_load_b64 s[0:1], s[0:1], 0x10
	v_dual_mov_b32 v32, 0 :: v_dual_lshlrev_b32 v33, 3, v0
	s_mul_i32 s8, s15, 0xc00
	v_dual_mov_b32 v31, 0 :: v_dual_mov_b32 v30, 0
	s_ashr_i32 s9, s8, 31
	s_delay_alu instid0(VALU_DEP_2)
	v_or_b32_e32 v34, 0x400, v33
	s_lshl_b64 s[8:9], s[8:9], 2
	v_or_b32_e32 v35, 0x800, v33
	v_dual_mov_b32 v29, 0 :: v_dual_mov_b32 v28, 0
	v_dual_mov_b32 v27, 0 :: v_dual_mov_b32 v26, 0
	;; [unrolled: 1-line block ×11, first 2 shown]
	v_mov_b32_e32 v7, 0
	s_waitcnt lgkmcnt(0)
	s_add_u32 s0, s0, s8
	s_mov_b32 s2, s15
	s_addc_u32 s1, s1, s9
	s_mov_b64 s[8:9], 0
.LBB57_1:                               ; =>This Inner Loop Header: Depth=1
	s_delay_alu instid0(SALU_CYCLE_1)
	s_cmp_eq_u32 s8, 1
	s_cselect_b32 vcc_lo, -1, 0
	s_cmp_eq_u32 s8, 2
	v_cndmask_b32_e32 v1, v33, v34, vcc_lo
	s_cselect_b32 vcc_lo, -1, 0
	s_add_u32 s8, s8, 1
	s_addc_u32 s9, s9, 0
	s_cmp_eq_u32 s8, 3
	v_cndmask_b32_e32 v36, v1, v35, vcc_lo
	s_delay_alu instid0(VALU_DEP_1) | instskip(NEXT) | instid1(VALU_DEP_1)
	v_lshlrev_b32_e32 v1, 1, v36
	v_add_co_u32 v37, s3, s6, v1
	s_delay_alu instid0(VALU_DEP_1)
	v_add_co_ci_u32_e64 v38, null, s7, 0, s3
	global_load_b128 v[1:4], v1, s[6:7]
	v_add_co_u32 v5, vcc_lo, 0x1000, v37
	v_add_co_ci_u32_e32 v6, vcc_lo, 0, v38, vcc_lo
	v_add_co_u32 v43, vcc_lo, 0x3000, v37
	v_add_co_ci_u32_e32 v44, vcc_lo, 0, v38, vcc_lo
	;; [unrolled: 2-line block ×13, first 2 shown]
	s_clause 0xc
	global_load_b128 v[39:42], v[5:6], off offset:2048
	global_load_b128 v[43:46], v[43:44], off
	global_load_b128 v[47:50], v[47:48], off offset:2048
	global_load_b128 v[51:54], v[51:52], off
	;; [unrolled: 2-line block ×6, first 2 shown]
	global_load_b128 v[87:90], v[87:88], off offset:2048
	s_waitcnt vmcnt(13)
	v_lshlrev_b32_e32 v91, 16, v1
	v_lshlrev_b32_e32 v93, 16, v2
	v_and_b32_e32 v96, 0xffff0000, v3
	s_waitcnt vmcnt(12)
	v_lshlrev_b32_e32 v112, 16, v40
	v_and_b32_e32 v123, 0xffff0000, v40
	v_lshlrev_b32_e32 v124, 16, v41
	v_and_b32_e32 v125, 0xffff0000, v41
	v_lshlrev_b32_e32 v126, 16, v42
	s_waitcnt vmcnt(7)
	v_lshlrev_b32_e32 v104, 16, v59
	v_lshlrev_b32_e32 v101, 16, v47
	v_and_b32_e32 v94, 0xffff0000, v2
	s_waitcnt vmcnt(5)
	v_lshlrev_b32_e32 v106, 16, v67
	s_waitcnt vmcnt(3)
	v_lshlrev_b32_e32 v108, 16, v75
	v_lshlrev_b32_e32 v105, 16, v63
	;; [unrolled: 1-line block ×4, first 2 shown]
	v_and_b32_e32 v92, 0xffff0000, v1
	v_add_co_u32 v1, vcc_lo, 0x15000, v37
	v_add_co_ci_u32_e32 v2, vcc_lo, 0, v38, vcc_lo
	v_add_co_u32 v5, vcc_lo, 0x16000, v37
	v_add_co_ci_u32_e32 v6, vcc_lo, 0, v38, vcc_lo
	v_lshlrev_b32_e32 v95, 16, v3
	v_lshlrev_b32_e32 v103, 16, v55
	v_and_b32_e32 v98, 0xffff0000, v4
	s_waitcnt vmcnt(2)
	v_lshlrev_b32_e32 v109, 16, v79
	v_lshlrev_b32_e32 v102, 16, v51
	;; [unrolled: 1-line block ×3, first 2 shown]
	v_and_b32_e32 v111, 0xffff0000, v39
	v_and_b32_e32 v127, 0xffff0000, v42
	s_clause 0x1
	global_load_b128 v[1:4], v[1:2], off
	global_load_b128 v[39:42], v[5:6], off offset:2048
	s_waitcnt vmcnt(1)
	v_lshlrev_b32_e32 v155, 16, v1
	v_and_b32_e32 v156, 0xffff0000, v1
	v_add_co_u32 v1, vcc_lo, 0x18000, v37
	v_lshlrev_b32_e32 v157, 16, v2
	v_and_b32_e32 v158, 0xffff0000, v2
	v_add_co_ci_u32_e32 v2, vcc_lo, 0, v38, vcc_lo
	v_add_co_u32 v5, vcc_lo, 0x19000, v37
	v_add_co_ci_u32_e32 v6, vcc_lo, 0, v38, vcc_lo
	v_lshlrev_b32_e32 v159, 16, v3
	v_and_b32_e32 v160, 0xffff0000, v3
	v_lshlrev_b32_e32 v161, 16, v4
	v_and_b32_e32 v162, 0xffff0000, v4
	s_waitcnt vmcnt(0)
	v_lshlrev_b32_e32 v163, 16, v39
	v_and_b32_e32 v164, 0xffff0000, v39
	v_lshlrev_b32_e32 v165, 16, v40
	v_and_b32_e32 v166, 0xffff0000, v40
	;; [unrolled: 2-line block ×4, first 2 shown]
	s_clause 0x1
	global_load_b128 v[1:4], v[1:2], off
	global_load_b128 v[39:42], v[5:6], off offset:2048
	s_waitcnt vmcnt(1)
	v_lshlrev_b32_e32 v171, 16, v1
	v_and_b32_e32 v172, 0xffff0000, v1
	v_add_co_u32 v1, vcc_lo, 0x1b000, v37
	v_lshlrev_b32_e32 v173, 16, v2
	v_and_b32_e32 v174, 0xffff0000, v2
	v_add_co_ci_u32_e32 v2, vcc_lo, 0, v38, vcc_lo
	v_add_co_u32 v5, vcc_lo, 0x1c000, v37
	v_add_co_ci_u32_e32 v6, vcc_lo, 0, v38, vcc_lo
	v_lshlrev_b32_e32 v175, 16, v3
	v_and_b32_e32 v176, 0xffff0000, v3
	v_lshlrev_b32_e32 v177, 16, v4
	v_and_b32_e32 v178, 0xffff0000, v4
	s_waitcnt vmcnt(0)
	v_lshlrev_b32_e32 v179, 16, v39
	v_and_b32_e32 v180, 0xffff0000, v39
	v_lshlrev_b32_e32 v181, 16, v40
	v_and_b32_e32 v182, 0xffff0000, v40
	v_lshlrev_b32_e32 v183, 16, v41
	v_and_b32_e32 v184, 0xffff0000, v41
	v_lshlrev_b32_e32 v185, 16, v42
	v_and_b32_e32 v186, 0xffff0000, v42
	s_clause 0x1
	global_load_b128 v[1:4], v[1:2], off
	global_load_b128 v[39:42], v[5:6], off offset:2048
	v_lshlrev_b32_e32 v36, 2, v36
	s_waitcnt vmcnt(1)
	v_lshlrev_b32_e32 v187, 16, v1
	v_and_b32_e32 v188, 0xffff0000, v1
	v_add_co_u32 v1, vcc_lo, 0x1e000, v37
	v_lshlrev_b32_e32 v189, 16, v2
	v_and_b32_e32 v190, 0xffff0000, v2
	v_add_co_ci_u32_e32 v2, vcc_lo, 0, v38, vcc_lo
	v_add_co_u32 v5, vcc_lo, 0x1f000, v37
	v_add_co_ci_u32_e32 v6, vcc_lo, 0, v38, vcc_lo
	v_lshlrev_b32_e32 v191, 16, v3
	v_and_b32_e32 v192, 0xffff0000, v3
	v_lshlrev_b32_e32 v193, 16, v4
	v_and_b32_e32 v194, 0xffff0000, v4
	s_waitcnt vmcnt(0)
	v_lshlrev_b32_e32 v195, 16, v39
	v_lshlrev_b32_e32 v197, 16, v40
	v_and_b32_e32 v198, 0xffff0000, v40
	v_lshlrev_b32_e32 v199, 16, v41
	v_and_b32_e32 v200, 0xffff0000, v41
	v_and_b32_e32 v196, 0xffff0000, v39
	v_lshlrev_b32_e32 v201, 16, v42
	v_and_b32_e32 v202, 0xffff0000, v42
	s_clause 0x1
	global_load_b128 v[1:4], v[1:2], off
	global_load_b128 v[39:42], v[5:6], off offset:2048
	s_waitcnt vmcnt(1)
	v_lshlrev_b32_e32 v203, 16, v1
	v_and_b32_e32 v204, 0xffff0000, v1
	v_add_co_u32 v1, vcc_lo, 0x21000, v37
	v_lshlrev_b32_e32 v205, 16, v2
	v_and_b32_e32 v206, 0xffff0000, v2
	v_add_co_ci_u32_e32 v2, vcc_lo, 0, v38, vcc_lo
	v_add_co_u32 v5, vcc_lo, 0x22000, v37
	v_add_co_ci_u32_e32 v6, vcc_lo, 0, v38, vcc_lo
	v_lshlrev_b32_e32 v207, 16, v3
	v_and_b32_e32 v208, 0xffff0000, v3
	v_lshlrev_b32_e32 v209, 16, v4
	v_and_b32_e32 v210, 0xffff0000, v4
	s_waitcnt vmcnt(0)
	v_lshlrev_b32_e32 v211, 16, v39
	v_and_b32_e32 v212, 0xffff0000, v39
	v_lshlrev_b32_e32 v213, 16, v40
	v_and_b32_e32 v214, 0xffff0000, v40
	;; [unrolled: 2-line block ×4, first 2 shown]
	s_clause 0x1
	global_load_b128 v[1:4], v[1:2], off
	global_load_b128 v[39:42], v[5:6], off offset:2048
	s_waitcnt vmcnt(1)
	v_lshlrev_b32_e32 v219, 16, v1
	s_waitcnt vmcnt(0)
	v_lshlrev_b32_e32 v232, 16, v42
	v_and_b32_e32 v220, 0xffff0000, v1
	v_add_co_u32 v1, vcc_lo, 0x24000, v37
	v_lshlrev_b32_e32 v221, 16, v2
	v_and_b32_e32 v222, 0xffff0000, v2
	v_add_co_ci_u32_e32 v2, vcc_lo, 0, v38, vcc_lo
	v_add_co_u32 v5, vcc_lo, 0x25000, v37
	v_add_co_ci_u32_e32 v6, vcc_lo, 0, v38, vcc_lo
	v_lshlrev_b32_e32 v223, 16, v3
	v_and_b32_e32 v224, 0xffff0000, v3
	v_lshlrev_b32_e32 v225, 16, v4
	v_and_b32_e32 v226, 0xffff0000, v4
	v_lshlrev_b32_e32 v227, 16, v39
	v_and_b32_e32 v228, 0xffff0000, v39
	v_lshlrev_b32_e32 v229, 16, v40
	v_and_b32_e32 v230, 0xffff0000, v40
	s_clause 0x1
	global_load_b128 v[1:4], v[1:2], off
	global_load_b128 v[37:40], v[5:6], off offset:2048
	v_and_b32_e32 v42, 0xffff0000, v42
	s_waitcnt vmcnt(1)
	v_lshlrev_b32_e32 v5, 16, v1
	v_and_b32_e32 v6, 0xffff0000, v1
	v_lshlrev_b32_e32 v233, 16, v2
	v_and_b32_e32 v234, 0xffff0000, v2
	;; [unrolled: 2-line block ×4, first 2 shown]
	s_waitcnt vmcnt(0)
	v_lshlrev_b32_e32 v239, 16, v37
	v_and_b32_e32 v240, 0xffff0000, v37
	v_lshlrev_b32_e32 v241, 16, v38
	v_and_b32_e32 v242, 0xffff0000, v38
	v_lshlrev_b32_e32 v243, 16, v39
	v_and_b32_e32 v244, 0xffff0000, v39
	s_clause 0x1
	global_load_b128 v[1:4], v36, s[0:1]
	global_load_b128 v[36:39], v36, s[0:1] offset:16
	v_lshlrev_b32_e32 v121, 16, v76
	v_lshlrev_b32_e32 v117, 16, v60
	;; [unrolled: 1-line block ×5, first 2 shown]
	s_waitcnt vmcnt(1)
	v_dual_fmac_f32 v15, v1, v179 :: v_dual_lshlrev_b32 v118, 16, v64
	v_dual_fmac_f32 v8, v1, v5 :: v_dual_and_b32 v63, 0xffff0000, v63
	v_fmac_f32_e32 v10, v1, v219
	v_and_b32_e32 v59, 0xffff0000, v59
	v_fmac_f32_e32 v14, v1, v187
	s_delay_alu instid0(VALU_DEP_4) | instskip(NEXT) | instid1(VALU_DEP_4)
	v_fmac_f32_e32 v8, v2, v6
	v_dual_fmac_f32 v10, v2, v220 :: v_dual_lshlrev_b32 v143, 16, v74
	v_lshlrev_b32_e32 v141, 16, v70
	s_delay_alu instid0(VALU_DEP_4) | instskip(NEXT) | instid1(VALU_DEP_4)
	v_dual_fmac_f32 v14, v2, v188 :: v_dual_and_b32 v51, 0xffff0000, v51
	v_fmac_f32_e32 v8, v3, v233
	s_delay_alu instid0(VALU_DEP_4) | instskip(SKIP_1) | instid1(VALU_DEP_4)
	v_dual_fmac_f32 v10, v3, v221 :: v_dual_lshlrev_b32 v151, 16, v87
	v_and_b32_e32 v87, 0xffff0000, v87
	v_dual_fmac_f32 v14, v3, v189 :: v_dual_lshlrev_b32 v137, 16, v62
	s_delay_alu instid0(VALU_DEP_4) | instskip(SKIP_3) | instid1(VALU_DEP_3)
	v_dual_fmac_f32 v8, v4, v234 :: v_dual_lshlrev_b32 v149, 16, v85
	v_fmac_f32_e32 v17, v1, v163
	v_dual_fmac_f32 v13, v1, v195 :: v_dual_fmac_f32 v10, v4, v222
	s_waitcnt vmcnt(0)
	v_fmac_f32_e32 v8, v36, v235
	v_dual_fmac_f32 v19, v1, v151 :: v_dual_lshlrev_b32 v114, 16, v48
	v_fmac_f32_e32 v17, v2, v164
	v_fmac_f32_e32 v26, v1, v104
	s_delay_alu instid0(VALU_DEP_4) | instskip(SKIP_3) | instid1(VALU_DEP_3)
	v_fmac_f32_e32 v8, v37, v236
	v_dual_fmac_f32 v12, v1, v203 :: v_dual_lshlrev_b32 v119, 16, v68
	v_and_b32_e32 v55, 0xffff0000, v55
	v_dual_fmac_f32 v29, v1, v101 :: v_dual_and_b32 v48, 0xffff0000, v48
	v_dual_fmac_f32 v7, v1, v239 :: v_dual_fmac_f32 v12, v2, v204
	v_lshlrev_b32_e32 v139, 16, v66
	v_fmac_f32_e32 v13, v2, v196
	v_fmac_f32_e32 v22, v1, v108
	;; [unrolled: 1-line block ×4, first 2 shown]
	v_and_b32_e32 v85, 0xffff0000, v85
	v_dual_fmac_f32 v11, v1, v211 :: v_dual_and_b32 v64, 0xffff0000, v64
	s_delay_alu instid0(VALU_DEP_3) | instskip(SKIP_2) | instid1(VALU_DEP_3)
	v_dual_fmac_f32 v25, v2, v63 :: v_dual_fmac_f32 v12, v4, v206
	v_lshlrev_b32_e32 v110, 16, v83
	v_lshlrev_b32_e32 v130, 16, v49
	v_dual_fmac_f32 v26, v2, v59 :: v_dual_fmac_f32 v25, v3, v118
	s_delay_alu instid0(VALU_DEP_4) | instskip(SKIP_4) | instid1(VALU_DEP_4)
	v_dual_fmac_f32 v12, v36, v207 :: v_dual_lshlrev_b32 v115, 16, v52
	v_fmac_f32_e32 v16, v1, v171
	v_and_b32_e32 v47, 0xffff0000, v47
	v_dual_fmac_f32 v10, v36, v223 :: v_dual_fmac_f32 v21, v1, v109
	v_fmac_f32_e32 v28, v1, v102
	v_fmac_f32_e32 v16, v2, v172
	s_delay_alu instid0(VALU_DEP_4) | instskip(SKIP_1) | instid1(VALU_DEP_3)
	v_dual_fmac_f32 v29, v2, v47 :: v_dual_and_b32 v56, 0xffff0000, v56
	v_and_b32_e32 v80, 0xffff0000, v80
	v_dual_fmac_f32 v16, v3, v173 :: v_dual_lshlrev_b32 v135, 16, v58
	v_and_b32_e32 v83, 0xffff0000, v83
	s_delay_alu instid0(VALU_DEP_4) | instskip(SKIP_2) | instid1(VALU_DEP_3)
	v_dual_fmac_f32 v29, v3, v114 :: v_dual_lshlrev_b32 v136, 16, v61
	v_dual_fmac_f32 v15, v2, v180 :: v_dual_fmac_f32 v24, v1, v106
	v_fmac_f32_e32 v27, v1, v103
	v_fmac_f32_e32 v29, v4, v48
	v_and_b32_e32 v60, 0xffff0000, v60
	v_fmac_f32_e32 v11, v2, v212
	v_dual_fmac_f32 v20, v1, v110 :: v_dual_lshlrev_b32 v107, 16, v71
	v_dual_fmac_f32 v26, v3, v117 :: v_dual_and_b32 v71, 0xffff0000, v71
	v_dual_fmac_f32 v16, v4, v174 :: v_dual_and_b32 v49, 0xffff0000, v49
	s_delay_alu instid0(VALU_DEP_3)
	v_dual_fmac_f32 v20, v2, v83 :: v_dual_fmac_f32 v29, v36, v130
	v_dual_fmac_f32 v25, v4, v64 :: v_dual_lshlrev_b32 v140, 16, v69
	v_fmac_f32_e32 v23, v1, v107
	v_dual_fmac_f32 v28, v2, v51 :: v_dual_lshlrev_b32 v131, 16, v50
	v_fmac_f32_e32 v27, v2, v55
	v_dual_fmac_f32 v26, v4, v60 :: v_dual_and_b32 v69, 0xffff0000, v69
	v_dual_fmac_f32 v29, v37, v49 :: v_dual_and_b32 v68, 0xffff0000, v68
	;; [unrolled: 1-line block ×3, first 2 shown]
	v_fmac_f32_e32 v9, v1, v227
	v_fmac_f32_e32 v28, v3, v115
	;; [unrolled: 1-line block ×3, first 2 shown]
	s_delay_alu instid0(VALU_DEP_4)
	v_fmac_f32_e32 v23, v3, v120
	v_dual_fmac_f32 v18, v1, v155 :: v_dual_lshlrev_b32 v113, 16, v44
	v_dual_fmac_f32 v29, v38, v131 :: v_dual_and_b32 v44, 0xffff0000, v44
	v_fmac_f32_e32 v32, v1, v91
	v_fmac_f32_e32 v30, v1, v100
	v_dual_fmac_f32 v31, v1, v99 :: v_dual_fmac_f32 v8, v38, v237
	s_delay_alu instid0(VALU_DEP_4) | instskip(SKIP_3) | instid1(VALU_DEP_3)
	v_fmac_f32_e32 v29, v39, v50
	v_dual_fmac_f32 v9, v2, v228 :: v_dual_and_b32 v74, 0xffff0000, v74
	v_dual_fmac_f32 v32, v2, v92 :: v_dual_and_b32 v75, 0xffff0000, v75
	v_lshlrev_b32_e32 v129, 16, v46
	v_dual_fmac_f32 v9, v3, v229 :: v_dual_and_b32 v46, 0xffff0000, v46
	v_fmac_f32_e32 v27, v3, v116
	s_delay_alu instid0(VALU_DEP_4) | instskip(NEXT) | instid1(VALU_DEP_3)
	v_fmac_f32_e32 v32, v3, v93
	v_dual_fmac_f32 v9, v4, v230 :: v_dual_lshlrev_b32 v138, 16, v65
	v_dual_fmac_f32 v18, v2, v156 :: v_dual_and_b32 v43, 0xffff0000, v43
	s_delay_alu instid0(VALU_DEP_3) | instskip(SKIP_1) | instid1(VALU_DEP_3)
	v_fmac_f32_e32 v32, v4, v94
	v_dual_fmac_f32 v31, v2, v111 :: v_dual_and_b32 v52, 0xffff0000, v52
	v_fmac_f32_e32 v30, v2, v43
	v_and_b32_e32 v67, 0xffff0000, v67
	v_lshlrev_b32_e32 v128, 16, v45
	v_dual_fmac_f32 v17, v3, v165 :: v_dual_and_b32 v58, 0xffff0000, v58
	v_fmac_f32_e32 v31, v3, v112
	v_dual_fmac_f32 v30, v3, v113 :: v_dual_fmac_f32 v27, v4, v56
	v_dual_fmac_f32 v25, v36, v138 :: v_dual_lshlrev_b32 v148, 16, v84
	s_delay_alu instid0(VALU_DEP_4) | instskip(SKIP_4) | instid1(VALU_DEP_4)
	v_fmac_f32_e32 v17, v4, v166
	v_and_b32_e32 v79, 0xffff0000, v79
	v_dual_fmac_f32 v31, v4, v123 :: v_dual_lshlrev_b32 v134, 16, v57
	v_dual_fmac_f32 v30, v4, v44 :: v_dual_and_b32 v61, 0xffff0000, v61
	v_fmac_f32_e32 v20, v3, v148
	v_dual_fmac_f32 v21, v2, v79 :: v_dual_and_b32 v72, 0xffff0000, v72
	v_dual_fmac_f32 v24, v2, v67 :: v_dual_and_b32 v45, 0xffff0000, v45
	;; [unrolled: 1-line block ×3, first 2 shown]
	s_delay_alu instid0(VALU_DEP_3)
	v_dual_fmac_f32 v23, v4, v72 :: v_dual_lshlrev_b32 v142, 16, v73
	v_lshlrev_b32_e32 v147, 16, v82
	v_dual_fmac_f32 v31, v36, v124 :: v_dual_and_b32 v82, 0xffff0000, v82
	v_dual_fmac_f32 v30, v36, v128 :: v_dual_lshlrev_b32 v153, 16, v89
	v_dual_fmac_f32 v21, v3, v122 :: v_dual_lshlrev_b32 v132, 16, v53
	v_dual_fmac_f32 v24, v3, v119 :: v_dual_and_b32 v53, 0xffff0000, v53
	v_and_b32_e32 v73, 0xffff0000, v73
	v_fmac_f32_e32 v23, v36, v142
	v_fmac_f32_e32 v31, v37, v125
	;; [unrolled: 1-line block ×4, first 2 shown]
	v_dual_fmac_f32 v19, v2, v87 :: v_dual_and_b32 v76, 0xffff0000, v76
	v_dual_fmac_f32 v11, v3, v213 :: v_dual_and_b32 v70, 0xffff0000, v70
	v_fmac_f32_e32 v22, v2, v75
	v_fmac_f32_e32 v7, v2, v240
	v_fmac_f32_e32 v32, v37, v96
	v_fmac_f32_e32 v23, v37, v73
	v_fmac_f32_e32 v31, v38, v126
	v_fmac_f32_e32 v30, v38, v129
	v_dual_fmac_f32 v13, v3, v197 :: v_dual_and_b32 v66, 0xffff0000, v66
	v_lshlrev_b32_e32 v152, 16, v88
	v_dual_fmac_f32 v28, v4, v52 :: v_dual_and_b32 v65, 0xffff0000, v65
	v_dual_fmac_f32 v21, v4, v80 :: v_dual_lshlrev_b32 v144, 16, v77
	s_delay_alu instid0(VALU_DEP_4) | instskip(NEXT) | instid1(VALU_DEP_4)
	v_dual_fmac_f32 v22, v3, v121 :: v_dual_fmac_f32 v13, v4, v198
	v_dual_fmac_f32 v19, v3, v152 :: v_dual_fmac_f32 v32, v38, v97
	v_dual_fmac_f32 v18, v3, v157 :: v_dual_lshlrev_b32 v133, 16, v54
	v_dual_fmac_f32 v23, v38, v143 :: v_dual_and_b32 v54, 0xffff0000, v54
	v_dual_fmac_f32 v11, v4, v214 :: v_dual_and_b32 v88, 0xffff0000, v88
	v_lshlrev_b32_e32 v146, 16, v81
	v_dual_fmac_f32 v22, v4, v76 :: v_dual_and_b32 v77, 0xffff0000, v77
	v_dual_fmac_f32 v28, v36, v132 :: v_dual_and_b32 v89, 0xffff0000, v89
	s_delay_alu instid0(VALU_DEP_4) | instskip(NEXT) | instid1(VALU_DEP_4)
	v_fmac_f32_e32 v19, v4, v88
	v_fmac_f32_e32 v21, v36, v146
	v_dual_fmac_f32 v30, v39, v46 :: v_dual_fmac_f32 v11, v36, v215
	v_dual_fmac_f32 v18, v4, v158 :: v_dual_and_b32 v81, 0xffff0000, v81
	v_fmac_f32_e32 v22, v36, v144
	v_fmac_f32_e32 v28, v37, v53
	v_dual_fmac_f32 v15, v3, v181 :: v_dual_and_b32 v62, 0xffff0000, v62
	v_dual_fmac_f32 v25, v37, v65 :: v_dual_and_b32 v84, 0xffff0000, v84
	v_dual_fmac_f32 v21, v37, v81 :: v_dual_fmac_f32 v14, v4, v190
	s_delay_alu instid0(VALU_DEP_3) | instskip(NEXT) | instid1(VALU_DEP_3)
	v_fmac_f32_e32 v15, v4, v182
	v_dual_fmac_f32 v20, v4, v84 :: v_dual_lshlrev_b32 v145, 16, v78
	v_dual_fmac_f32 v19, v36, v153 :: v_dual_lshlrev_b32 v150, 16, v86
	v_fmac_f32_e32 v24, v36, v140
	v_fmac_f32_e32 v26, v37, v61
	;; [unrolled: 1-line block ×4, first 2 shown]
	v_dual_fmac_f32 v7, v3, v241 :: v_dual_and_b32 v78, 0xffff0000, v78
	v_fmac_f32_e32 v20, v36, v149
	v_fmac_f32_e32 v18, v36, v159
	v_fmac_f32_e32 v24, v37, v69
	v_fmac_f32_e32 v19, v37, v89
	v_fmac_f32_e32 v14, v37, v192
	v_fmac_f32_e32 v26, v38, v137
	v_lshlrev_b32_e32 v231, 16, v41
	v_dual_fmac_f32 v7, v4, v242 :: v_dual_fmac_f32 v20, v37, v85
	v_fmac_f32_e32 v18, v37, v160
	s_delay_alu instid0(VALU_DEP_4)
	v_fmac_f32_e32 v26, v39, v62
	v_dual_fmac_f32 v15, v36, v183 :: v_dual_lshlrev_b32 v154, 16, v90
	v_dual_fmac_f32 v9, v36, v231 :: v_dual_fmac_f32 v24, v38, v141
	v_and_b32_e32 v41, 0xffff0000, v41
	v_fmac_f32_e32 v14, v38, v193
	v_fmac_f32_e32 v32, v39, v98
	;; [unrolled: 1-line block ×4, first 2 shown]
	v_dual_fmac_f32 v17, v36, v167 :: v_dual_and_b32 v86, 0xffff0000, v86
	v_fmac_f32_e32 v9, v37, v41
	v_dual_fmac_f32 v19, v38, v154 :: v_dual_fmac_f32 v12, v37, v208
	v_dual_fmac_f32 v13, v36, v199 :: v_dual_and_b32 v90, 0xffff0000, v90
	v_dual_fmac_f32 v14, v39, v194 :: v_dual_fmac_f32 v7, v36, v243
	v_fmac_f32_e32 v27, v36, v134
	v_fmac_f32_e32 v17, v37, v168
	;; [unrolled: 1-line block ×4, first 2 shown]
	v_dual_fmac_f32 v11, v37, v216 :: v_dual_fmac_f32 v12, v38, v209
	v_lshlrev_b32_e32 v245, 16, v40
	v_fmac_f32_e32 v19, v39, v90
	v_fmac_f32_e32 v7, v37, v244
	s_delay_alu instid0(VALU_DEP_4)
	v_dual_fmac_f32 v27, v37, v57 :: v_dual_fmac_f32 v12, v39, v210
	v_fmac_f32_e32 v16, v37, v176
	v_fmac_f32_e32 v15, v37, v184
	v_dual_fmac_f32 v13, v37, v200 :: v_dual_fmac_f32 v18, v38, v161
	v_dual_fmac_f32 v17, v38, v169 :: v_dual_and_b32 v40, 0xffff0000, v40
	v_dual_fmac_f32 v11, v38, v217 :: v_dual_fmac_f32 v10, v37, v224
	v_fmac_f32_e32 v7, v38, v245
	s_delay_alu instid0(VALU_DEP_3)
	v_dual_fmac_f32 v17, v39, v170 :: v_dual_fmac_f32 v28, v38, v133
	v_fmac_f32_e32 v27, v38, v135
	v_fmac_f32_e32 v22, v38, v145
	;; [unrolled: 1-line block ×6, first 2 shown]
	v_dual_fmac_f32 v10, v38, v225 :: v_dual_fmac_f32 v7, v39, v40
	v_fmac_f32_e32 v9, v38, v232
	v_fmac_f32_e32 v31, v39, v127
	;; [unrolled: 1-line block ×17, first 2 shown]
	s_cbranch_scc0 .LBB57_1
; %bb.2:
	v_mbcnt_lo_u32_b32 v5, -1, 0
	v_lshrrev_b32_e32 v34, 5, v0
	s_delay_alu instid0(VALU_DEP_2) | instskip(SKIP_1) | instid1(VALU_DEP_2)
	v_xor_b32_e32 v1, 16, v5
	v_xor_b32_e32 v2, 8, v5
	v_cmp_gt_i32_e32 vcc_lo, 32, v1
	v_cndmask_b32_e32 v1, v5, v1, vcc_lo
	s_delay_alu instid0(VALU_DEP_3) | instskip(SKIP_1) | instid1(VALU_DEP_1)
	v_cmp_gt_i32_e32 vcc_lo, 32, v2
	v_cndmask_b32_e32 v2, v5, v2, vcc_lo
	v_lshlrev_b32_e32 v2, 2, v2
	s_delay_alu instid0(VALU_DEP_4)
	v_lshlrev_b32_e32 v1, 2, v1
	ds_bpermute_b32 v3, v1, v32
	s_waitcnt lgkmcnt(0)
	v_add_f32_e32 v4, v32, v3
	v_xor_b32_e32 v3, 4, v5
	ds_bpermute_b32 v6, v2, v4
	v_cmp_gt_i32_e32 vcc_lo, 32, v3
	s_waitcnt lgkmcnt(0)
	v_dual_cndmask_b32 v3, v5, v3 :: v_dual_add_f32 v6, v4, v6
	s_delay_alu instid0(VALU_DEP_1)
	v_lshlrev_b32_e32 v3, 2, v3
	v_xor_b32_e32 v4, 2, v5
	ds_bpermute_b32 v32, v3, v6
	v_cmp_gt_i32_e32 vcc_lo, 32, v4
	v_cndmask_b32_e32 v4, v5, v4, vcc_lo
	s_waitcnt lgkmcnt(0)
	v_add_f32_e32 v32, v6, v32
	v_xor_b32_e32 v6, 1, v5
	s_delay_alu instid0(VALU_DEP_1) | instskip(SKIP_1) | instid1(VALU_DEP_1)
	v_cmp_gt_i32_e32 vcc_lo, 32, v6
	v_cndmask_b32_e32 v5, v5, v6, vcc_lo
	v_lshlrev_b32_e32 v6, 2, v5
	v_and_b32_e32 v5, 31, v0
	s_delay_alu instid0(VALU_DEP_1)
	v_cmp_eq_u32_e32 vcc_lo, 0, v5
	v_lshlrev_b32_e32 v5, 2, v34
	v_lshlrev_b32_e32 v4, 2, v4
	ds_bpermute_b32 v33, v4, v32
	s_waitcnt lgkmcnt(0)
	v_add_f32_e32 v32, v32, v33
	ds_bpermute_b32 v33, v6, v32
	s_and_saveexec_b32 s0, vcc_lo
	s_cbranch_execz .LBB57_4
; %bb.3:
	s_waitcnt lgkmcnt(0)
	v_add_f32_e32 v32, v32, v33
	ds_store_b32 v5, v32
.LBB57_4:
	s_or_b32 exec_lo, exec_lo, s0
	ds_bpermute_b32 v32, v1, v31
	s_waitcnt lgkmcnt(0)
	v_add_f32_e32 v31, v31, v32
	ds_bpermute_b32 v32, v2, v31
	s_waitcnt lgkmcnt(0)
	v_add_f32_e32 v31, v31, v32
	ds_bpermute_b32 v32, v3, v31
	s_waitcnt lgkmcnt(0)
	v_add_f32_e32 v31, v31, v32
	ds_bpermute_b32 v32, v4, v31
	s_waitcnt lgkmcnt(0)
	v_add_f32_e32 v31, v31, v32
	ds_bpermute_b32 v32, v6, v31
	s_and_saveexec_b32 s0, vcc_lo
	s_cbranch_execz .LBB57_6
; %bb.5:
	s_waitcnt lgkmcnt(0)
	v_add_f32_e32 v31, v31, v32
	ds_store_b32 v5, v31 offset:16
.LBB57_6:
	s_or_b32 exec_lo, exec_lo, s0
	ds_bpermute_b32 v31, v1, v30
	s_waitcnt lgkmcnt(0)
	v_add_f32_e32 v30, v30, v31
	ds_bpermute_b32 v31, v2, v30
	s_waitcnt lgkmcnt(0)
	v_add_f32_e32 v30, v30, v31
	ds_bpermute_b32 v31, v3, v30
	s_waitcnt lgkmcnt(0)
	v_add_f32_e32 v30, v30, v31
	ds_bpermute_b32 v31, v4, v30
	s_waitcnt lgkmcnt(0)
	v_add_f32_e32 v30, v30, v31
	ds_bpermute_b32 v31, v6, v30
	s_and_saveexec_b32 s0, vcc_lo
	s_cbranch_execz .LBB57_8
; %bb.7:
	s_waitcnt lgkmcnt(0)
	v_add_f32_e32 v30, v30, v31
	ds_store_b32 v5, v30 offset:32
.LBB57_8:
	;; [unrolled: 21-line block ×25, first 2 shown]
	s_or_b32 exec_lo, exec_lo, s0
	s_waitcnt lgkmcnt(0)
	s_barrier
	buffer_gl0_inv
	s_mov_b32 s0, exec_lo
	v_cmpx_eq_u32_e32 0, v0
	s_cbranch_execz .LBB57_56
; %bb.55:
	v_mov_b32_e32 v40, 0
	s_ashr_i32 s3, s2, 31
	ds_load_b128 v[0:3], v40
	ds_load_b128 v[4:7], v40 offset:16
	ds_load_b128 v[8:11], v40 offset:32
	;; [unrolled: 1-line block ×7, first 2 shown]
	s_lshl_b64 s[0:1], s[2:3], 2
	s_delay_alu instid0(SALU_CYCLE_1)
	s_add_u32 s0, s4, s0
	s_addc_u32 s1, s5, s1
	s_waitcnt lgkmcnt(4)
	v_add_f32_e32 v12, 0, v12
	v_add_f32_e32 v0, 0, v0
	s_waitcnt lgkmcnt(2)
	v_add_f32_e32 v20, 0, v20
	v_add_f32_e32 v4, 0, v4
	s_waitcnt lgkmcnt(0)
	v_add_f32_e32 v28, 0, v28
	v_add_f32_e32 v24, 0, v24
	v_add_f32_e32 v0, v0, v1
	v_add_f32_e32 v1, v4, v5
	ds_load_b128 v[32:35], v40 offset:128
	ds_load_b128 v[36:39], v40 offset:144
	v_dual_add_f32 v5, v12, v13 :: v_dual_add_f32 v8, 0, v8
	s_delay_alu instid0(VALU_DEP_1) | instskip(NEXT) | instid1(VALU_DEP_1)
	v_dual_add_f32 v5, v5, v14 :: v_dual_add_f32 v4, v8, v9
	v_dual_add_f32 v42, v5, v15 :: v_dual_add_f32 v5, v28, v29
	s_waitcnt lgkmcnt(0)
	v_dual_add_f32 v12, v24, v25 :: v_dual_add_f32 v13, 0, v36
	s_delay_alu instid0(VALU_DEP_3) | instskip(NEXT) | instid1(VALU_DEP_1)
	v_add_f32_e32 v4, v4, v10
	v_dual_add_f32 v16, 0, v16 :: v_dual_add_f32 v41, v4, v11
	s_delay_alu instid0(VALU_DEP_1) | instskip(NEXT) | instid1(VALU_DEP_1)
	v_add_f32_e32 v8, v16, v17
	v_add_f32_e32 v8, v8, v18
	s_delay_alu instid0(VALU_DEP_1) | instskip(SKIP_1) | instid1(VALU_DEP_2)
	v_dual_add_f32 v43, v8, v19 :: v_dual_add_f32 v8, v5, v30
	v_dual_add_f32 v6, v1, v6 :: v_dual_add_f32 v9, v20, v21
	v_add_f32_e32 v29, v8, v31
	s_delay_alu instid0(VALU_DEP_2) | instskip(SKIP_4) | instid1(VALU_DEP_4)
	v_add_f32_e32 v25, v6, v7
	v_dual_add_f32 v7, 0, v32 :: v_dual_add_f32 v0, v0, v2
	v_add_f32_e32 v31, v13, v37
	v_add_f32_e32 v4, v9, v22
	;; [unrolled: 1-line block ×5, first 2 shown]
	ds_load_b128 v[0:3], v40 offset:160
	v_add_f32_e32 v28, v4, v23
	v_add_f32_e32 v27, v6, v27
	ds_load_b128 v[4:7], v40 offset:176
	ds_load_b128 v[8:11], v40 offset:192
	v_add_f32_e32 v30, v12, v34
	ds_load_b128 v[12:15], v40 offset:208
	ds_load_b128 v[16:19], v40 offset:224
	;; [unrolled: 1-line block ×3, first 2 shown]
	s_waitcnt lgkmcnt(5)
	v_dual_mov_b32 v33, 0x2000 :: v_dual_add_f32 v0, 0, v0
	s_waitcnt lgkmcnt(4)
	s_delay_alu instid0(VALU_DEP_1) | instskip(SKIP_2) | instid1(VALU_DEP_2)
	v_dual_add_f32 v0, v0, v1 :: v_dual_add_f32 v1, 0, v4
	s_waitcnt lgkmcnt(3)
	v_add_f32_e32 v4, 0, v8
	v_dual_add_f32 v0, v0, v2 :: v_dual_add_f32 v1, v1, v5
	s_delay_alu instid0(VALU_DEP_2) | instskip(SKIP_2) | instid1(VALU_DEP_3)
	v_add_f32_e32 v2, v4, v9
	s_waitcnt lgkmcnt(2)
	v_add_f32_e32 v4, 0, v12
	v_add_f32_e32 v12, v0, v3
	s_waitcnt lgkmcnt(1)
	v_dual_add_f32 v0, 0, v16 :: v_dual_add_f32 v1, v1, v6
	s_waitcnt lgkmcnt(0)
	v_dual_add_f32 v3, v4, v13 :: v_dual_add_f32 v4, 0, v20
	v_mov_b32_e32 v26, 0x1000
	s_delay_alu instid0(VALU_DEP_3) | instskip(SKIP_1) | instid1(VALU_DEP_4)
	v_add_f32_e32 v0, v0, v17
	v_dual_add_f32 v2, v2, v10 :: v_dual_add_f32 v13, v1, v7
	v_dual_add_f32 v17, v4, v21 :: v_dual_add_f32 v14, v3, v14
	s_delay_alu instid0(VALU_DEP_3) | instskip(NEXT) | instid1(VALU_DEP_3)
	v_add_f32_e32 v18, v0, v18
	v_dual_add_f32 v16, v2, v11 :: v_dual_mov_b32 v21, 0x3000
	s_delay_alu instid0(VALU_DEP_3)
	v_add_f32_e32 v17, v17, v22
	s_clause 0x7
	global_store_b32 v40, v24, s[0:1]
	global_store_b32 v40, v25, s[0:1] offset:1024
	global_store_b32 v40, v41, s[0:1] offset:2048
	;; [unrolled: 1-line block ×3, first 2 shown]
	global_store_b32 v26, v43, s[0:1]
	global_store_b32 v26, v28, s[0:1] offset:1024
	global_store_b32 v26, v27, s[0:1] offset:2048
	global_store_b32 v26, v29, s[0:1] offset:3072
	v_add_f32_e32 v24, v31, v38
	v_add_f32_e32 v14, v14, v15
	;; [unrolled: 1-line block ×4, first 2 shown]
	s_delay_alu instid0(VALU_DEP_4)
	v_add_f32_e32 v34, v24, v39
	ds_load_b128 v[24:27], v40 offset:256
	ds_load_b128 v[0:3], v40 offset:272
	;; [unrolled: 1-line block ×4, first 2 shown]
	s_waitcnt lgkmcnt(2)
	v_add_f32_e32 v0, 0, v0
	s_waitcnt lgkmcnt(1)
	v_add_f32_e32 v4, 0, v4
	v_add_f32_e32 v20, 0, v24
	s_waitcnt lgkmcnt(0)
	v_add_f32_e32 v8, 0, v8
	v_add_f32_e32 v0, v0, v1
	v_dual_add_f32 v1, v4, v5 :: v_dual_add_f32 v32, v30, v35
	ds_load_b128 v[28:31], v40 offset:320
	v_add_f32_e32 v18, v20, v25
	v_dual_add_f32 v4, v8, v9 :: v_dual_add_f32 v1, v1, v6
	s_clause 0x7
	global_store_b32 v33, v32, s[0:1]
	global_store_b32 v33, v34, s[0:1] offset:1024
	global_store_b32 v33, v12, s[0:1] offset:2048
	;; [unrolled: 1-line block ×3, first 2 shown]
	global_store_b32 v21, v16, s[0:1]
	global_store_b32 v21, v14, s[0:1] offset:1024
	global_store_b32 v21, v15, s[0:1] offset:2048
	;; [unrolled: 1-line block ×3, first 2 shown]
	ds_load_b128 v[12:15], v40 offset:336
	v_add_f32_e32 v24, v18, v26
	ds_load_b128 v[16:19], v40 offset:352
	ds_load_b128 v[20:23], v40 offset:368
	ds_load_b128 v[32:35], v40 offset:384
	ds_load_b128 v[36:39], v40 offset:400
	v_add_f32_e32 v0, v0, v2
	v_dual_add_f32 v2, v4, v10 :: v_dual_add_f32 v1, v1, v7
	v_add_f32_e32 v8, v24, v27
	v_mov_b32_e32 v6, 0x5000
	s_delay_alu instid0(VALU_DEP_4) | instskip(SKIP_2) | instid1(VALU_DEP_1)
	v_add_f32_e32 v0, v0, v3
	s_waitcnt lgkmcnt(5)
	v_dual_add_f32 v2, v2, v11 :: v_dual_add_f32 v25, 0, v28
	v_add_f32_e32 v5, v25, v29
	s_waitcnt lgkmcnt(3)
	v_add_f32_e32 v7, 0, v16
	s_waitcnt lgkmcnt(2)
	;; [unrolled: 2-line block ×4, first 2 shown]
	v_dual_add_f32 v11, 0, v36 :: v_dual_add_f32 v4, v5, v30
	v_add_f32_e32 v7, v7, v17
	v_add_f32_e32 v9, v9, v21
	;; [unrolled: 1-line block ×3, first 2 shown]
	s_delay_alu instid0(VALU_DEP_4)
	v_add_f32_e32 v11, v11, v37
	v_dual_add_f32 v3, v4, v31 :: v_dual_add_f32 v4, 0, v12
	v_mov_b32_e32 v5, 0x4000
	v_add_f32_e32 v7, v7, v18
	v_add_f32_e32 v9, v9, v22
	;; [unrolled: 1-line block ×3, first 2 shown]
	v_dual_add_f32 v4, v4, v13 :: v_dual_add_f32 v11, v11, v38
	s_delay_alu instid0(VALU_DEP_4) | instskip(NEXT) | instid1(VALU_DEP_4)
	v_add_f32_e32 v7, v7, v19
	v_add_f32_e32 v9, v9, v23
	s_delay_alu instid0(VALU_DEP_4) | instskip(NEXT) | instid1(VALU_DEP_4)
	v_add_f32_e32 v10, v10, v35
	v_add_f32_e32 v4, v4, v14
	v_dual_mov_b32 v12, 0x6000 :: v_dual_add_f32 v11, v11, v39
	s_delay_alu instid0(VALU_DEP_2)
	v_add_f32_e32 v4, v4, v15
	s_clause 0x9
	global_store_b32 v5, v8, s[0:1]
	global_store_b32 v5, v0, s[0:1] offset:1024
	global_store_b32 v5, v1, s[0:1] offset:2048
	;; [unrolled: 1-line block ×3, first 2 shown]
	global_store_b32 v6, v3, s[0:1]
	global_store_b32 v6, v4, s[0:1] offset:1024
	global_store_b32 v6, v7, s[0:1] offset:2048
	;; [unrolled: 1-line block ×3, first 2 shown]
	global_store_b32 v12, v10, s[0:1]
	global_store_b32 v12, v11, s[0:1] offset:1024
.LBB57_56:
	s_nop 0
	s_sendmsg sendmsg(MSG_DEALLOC_VGPRS)
	s_endpgm
	.section	.rodata,"a",@progbits
	.p2align	6, 0x0
	.amdhsa_kernel _Z23fp32_router_gemm_kernelI14__hip_bfloat16Li128ELi26ELi256ELi3072EEvPfPKT_PKf
		.amdhsa_group_segment_fixed_size 416
		.amdhsa_private_segment_fixed_size 0
		.amdhsa_kernarg_size 24
		.amdhsa_user_sgpr_count 15
		.amdhsa_user_sgpr_dispatch_ptr 0
		.amdhsa_user_sgpr_queue_ptr 0
		.amdhsa_user_sgpr_kernarg_segment_ptr 1
		.amdhsa_user_sgpr_dispatch_id 0
		.amdhsa_user_sgpr_private_segment_size 0
		.amdhsa_wavefront_size32 1
		.amdhsa_uses_dynamic_stack 0
		.amdhsa_enable_private_segment 0
		.amdhsa_system_sgpr_workgroup_id_x 1
		.amdhsa_system_sgpr_workgroup_id_y 0
		.amdhsa_system_sgpr_workgroup_id_z 0
		.amdhsa_system_sgpr_workgroup_info 0
		.amdhsa_system_vgpr_workitem_id 0
		.amdhsa_next_free_vgpr 246
		.amdhsa_next_free_sgpr 16
		.amdhsa_reserve_vcc 1
		.amdhsa_float_round_mode_32 0
		.amdhsa_float_round_mode_16_64 0
		.amdhsa_float_denorm_mode_32 3
		.amdhsa_float_denorm_mode_16_64 3
		.amdhsa_dx10_clamp 1
		.amdhsa_ieee_mode 1
		.amdhsa_fp16_overflow 0
		.amdhsa_workgroup_processor_mode 1
		.amdhsa_memory_ordered 1
		.amdhsa_forward_progress 0
		.amdhsa_shared_vgpr_count 0
		.amdhsa_exception_fp_ieee_invalid_op 0
		.amdhsa_exception_fp_denorm_src 0
		.amdhsa_exception_fp_ieee_div_zero 0
		.amdhsa_exception_fp_ieee_overflow 0
		.amdhsa_exception_fp_ieee_underflow 0
		.amdhsa_exception_fp_ieee_inexact 0
		.amdhsa_exception_int_div_zero 0
	.end_amdhsa_kernel
	.section	.text._Z23fp32_router_gemm_kernelI14__hip_bfloat16Li128ELi26ELi256ELi3072EEvPfPKT_PKf,"axG",@progbits,_Z23fp32_router_gemm_kernelI14__hip_bfloat16Li128ELi26ELi256ELi3072EEvPfPKT_PKf,comdat
.Lfunc_end57:
	.size	_Z23fp32_router_gemm_kernelI14__hip_bfloat16Li128ELi26ELi256ELi3072EEvPfPKT_PKf, .Lfunc_end57-_Z23fp32_router_gemm_kernelI14__hip_bfloat16Li128ELi26ELi256ELi3072EEvPfPKT_PKf
                                        ; -- End function
	.section	.AMDGPU.csdata,"",@progbits
; Kernel info:
; codeLenInByte = 6984
; NumSgprs: 18
; NumVgprs: 246
; ScratchSize: 0
; MemoryBound: 0
; FloatMode: 240
; IeeeMode: 1
; LDSByteSize: 416 bytes/workgroup (compile time only)
; SGPRBlocks: 2
; VGPRBlocks: 30
; NumSGPRsForWavesPerEU: 18
; NumVGPRsForWavesPerEU: 246
; Occupancy: 5
; WaveLimiterHint : 1
; COMPUTE_PGM_RSRC2:SCRATCH_EN: 0
; COMPUTE_PGM_RSRC2:USER_SGPR: 15
; COMPUTE_PGM_RSRC2:TRAP_HANDLER: 0
; COMPUTE_PGM_RSRC2:TGID_X_EN: 1
; COMPUTE_PGM_RSRC2:TGID_Y_EN: 0
; COMPUTE_PGM_RSRC2:TGID_Z_EN: 0
; COMPUTE_PGM_RSRC2:TIDIG_COMP_CNT: 0
	.section	.text._Z23fp32_router_gemm_kernelI14__hip_bfloat16Li128ELi27ELi256ELi3072EEvPfPKT_PKf,"axG",@progbits,_Z23fp32_router_gemm_kernelI14__hip_bfloat16Li128ELi27ELi256ELi3072EEvPfPKT_PKf,comdat
	.protected	_Z23fp32_router_gemm_kernelI14__hip_bfloat16Li128ELi27ELi256ELi3072EEvPfPKT_PKf ; -- Begin function _Z23fp32_router_gemm_kernelI14__hip_bfloat16Li128ELi27ELi256ELi3072EEvPfPKT_PKf
	.globl	_Z23fp32_router_gemm_kernelI14__hip_bfloat16Li128ELi27ELi256ELi3072EEvPfPKT_PKf
	.p2align	8
	.type	_Z23fp32_router_gemm_kernelI14__hip_bfloat16Li128ELi27ELi256ELi3072EEvPfPKT_PKf,@function
_Z23fp32_router_gemm_kernelI14__hip_bfloat16Li128ELi27ELi256ELi3072EEvPfPKT_PKf: ; @_Z23fp32_router_gemm_kernelI14__hip_bfloat16Li128ELi27ELi256ELi3072EEvPfPKT_PKf
; %bb.0:
	s_clause 0x1
	s_load_b128 s[4:7], s[0:1], 0x0
	s_load_b64 s[0:1], s[0:1], 0x10
	v_dual_mov_b32 v27, 0 :: v_dual_lshlrev_b32 v28, 3, v0
	s_mul_i32 s8, s15, 0xc00
	v_dual_mov_b32 v26, 0 :: v_dual_mov_b32 v25, 0
	s_ashr_i32 s9, s8, 31
	s_delay_alu instid0(VALU_DEP_2)
	v_or_b32_e32 v29, 0x400, v28
	s_lshl_b64 s[8:9], s[8:9], 2
	v_or_b32_e32 v30, 0x800, v28
	v_dual_mov_b32 v24, 0 :: v_dual_mov_b32 v23, 0
	v_dual_mov_b32 v22, 0 :: v_dual_mov_b32 v21, 0
	;; [unrolled: 1-line block ×12, first 2 shown]
	s_waitcnt lgkmcnt(0)
	s_add_u32 s0, s0, s8
	s_mov_b32 s2, s15
	s_addc_u32 s1, s1, s9
	s_mov_b64 s[8:9], 0
.LBB58_1:                               ; =>This Inner Loop Header: Depth=1
	s_delay_alu instid0(SALU_CYCLE_1)
	s_cmp_eq_u32 s8, 1
	s_cselect_b32 vcc_lo, -1, 0
	s_cmp_eq_u32 s8, 2
	v_cndmask_b32_e32 v31, v28, v29, vcc_lo
	s_cselect_b32 vcc_lo, -1, 0
	s_add_u32 s8, s8, 1
	s_addc_u32 s9, s9, 0
	s_cmp_eq_u32 s8, 3
	v_cndmask_b32_e32 v31, v31, v30, vcc_lo
	s_delay_alu instid0(VALU_DEP_1) | instskip(NEXT) | instid1(VALU_DEP_1)
	v_lshlrev_b32_e32 v33, 1, v31
	v_add_co_u32 v32, s3, s6, v33
	s_delay_alu instid0(VALU_DEP_1)
	v_add_co_ci_u32_e64 v34, null, s7, 0, s3
	global_load_b128 v[35:38], v33, s[6:7]
	v_add_co_u32 v39, vcc_lo, 0x1000, v32
	v_add_co_ci_u32_e32 v40, vcc_lo, 0, v34, vcc_lo
	v_add_co_u32 v43, vcc_lo, 0x3000, v32
	v_add_co_ci_u32_e32 v44, vcc_lo, 0, v34, vcc_lo
	;; [unrolled: 2-line block ×15, first 2 shown]
	s_clause 0xe
	global_load_b128 v[39:42], v[39:40], off offset:2048
	global_load_b128 v[43:46], v[43:44], off
	global_load_b128 v[47:50], v[47:48], off offset:2048
	global_load_b128 v[51:54], v[51:52], off
	global_load_b128 v[55:58], v[55:56], off offset:2048
	global_load_b128 v[59:62], v[59:60], off
	global_load_b128 v[63:66], v[63:64], off offset:2048
	global_load_b128 v[67:70], v[67:68], off
	global_load_b128 v[71:74], v[71:72], off offset:2048
	global_load_b128 v[75:78], v[75:76], off
	global_load_b128 v[79:82], v[79:80], off offset:2048
	global_load_b128 v[83:86], v[83:84], off
	global_load_b128 v[87:90], v[87:88], off offset:2048
	global_load_b128 v[91:94], v[91:92], off
	global_load_b128 v[95:98], v[95:96], off offset:2048
	s_waitcnt vmcnt(15)
	v_and_b32_e32 v100, 0xffff0000, v35
	v_and_b32_e32 v102, 0xffff0000, v36
	;; [unrolled: 1-line block ×3, first 2 shown]
	s_waitcnt vmcnt(14)
	v_and_b32_e32 v122, 0xffff0000, v39
	v_lshlrev_b32_e32 v123, 16, v40
	v_and_b32_e32 v138, 0xffff0000, v40
	v_lshlrev_b32_e32 v139, 16, v41
	s_waitcnt vmcnt(10)
	v_lshlrev_b32_e32 v111, 16, v55
	v_lshlrev_b32_e32 v103, 16, v37
	s_waitcnt vmcnt(8)
	v_lshlrev_b32_e32 v113, 16, v63
	v_lshlrev_b32_e32 v99, 16, v35
	v_add_co_u32 v35, vcc_lo, 0x18000, v32
	s_waitcnt vmcnt(4)
	v_lshlrev_b32_e32 v117, 16, v79
	v_lshlrev_b32_e32 v107, 16, v39
	;; [unrolled: 1-line block ×3, first 2 shown]
	v_add_co_ci_u32_e32 v36, vcc_lo, 0, v34, vcc_lo
	v_add_co_u32 v39, vcc_lo, 0x19000, v32
	v_add_co_ci_u32_e32 v40, vcc_lo, 0, v34, vcc_lo
	v_and_b32_e32 v104, 0xffff0000, v37
	v_lshlrev_b32_e32 v115, 16, v71
	v_lshlrev_b32_e32 v105, 16, v38
	v_and_b32_e32 v140, 0xffff0000, v41
	v_lshlrev_b32_e32 v141, 16, v42
	v_and_b32_e32 v142, 0xffff0000, v42
	s_clause 0x1
	global_load_b128 v[35:38], v[35:36], off
	global_load_b128 v[39:42], v[39:40], off offset:2048
	s_waitcnt vmcnt(1)
	v_lshlrev_b32_e32 v171, 16, v35
	v_and_b32_e32 v174, 0xffff0000, v36
	v_and_b32_e32 v172, 0xffff0000, v35
	v_add_co_u32 v35, vcc_lo, 0x1b000, v32
	v_lshlrev_b32_e32 v173, 16, v36
	v_add_co_ci_u32_e32 v36, vcc_lo, 0, v34, vcc_lo
	s_waitcnt vmcnt(0)
	v_lshlrev_b32_e32 v179, 16, v39
	v_and_b32_e32 v180, 0xffff0000, v39
	v_add_co_u32 v39, vcc_lo, 0x1c000, v32
	v_lshlrev_b32_e32 v181, 16, v40
	v_and_b32_e32 v182, 0xffff0000, v40
	v_add_co_ci_u32_e32 v40, vcc_lo, 0, v34, vcc_lo
	v_lshlrev_b32_e32 v175, 16, v37
	v_and_b32_e32 v176, 0xffff0000, v37
	v_lshlrev_b32_e32 v177, 16, v38
	v_and_b32_e32 v178, 0xffff0000, v38
	;; [unrolled: 2-line block ×4, first 2 shown]
	s_clause 0x1
	global_load_b128 v[35:38], v[35:36], off
	global_load_b128 v[39:42], v[39:40], off offset:2048
	s_waitcnt vmcnt(1)
	v_lshlrev_b32_e32 v187, 16, v35
	v_and_b32_e32 v188, 0xffff0000, v35
	v_add_co_u32 v35, vcc_lo, 0x1e000, v32
	v_lshlrev_b32_e32 v189, 16, v36
	v_and_b32_e32 v190, 0xffff0000, v36
	v_add_co_ci_u32_e32 v36, vcc_lo, 0, v34, vcc_lo
	s_waitcnt vmcnt(0)
	v_lshlrev_b32_e32 v195, 16, v39
	v_and_b32_e32 v196, 0xffff0000, v39
	v_add_co_u32 v39, vcc_lo, 0x1f000, v32
	v_lshlrev_b32_e32 v197, 16, v40
	v_and_b32_e32 v198, 0xffff0000, v40
	v_add_co_ci_u32_e32 v40, vcc_lo, 0, v34, vcc_lo
	v_lshlrev_b32_e32 v191, 16, v37
	v_and_b32_e32 v192, 0xffff0000, v37
	v_lshlrev_b32_e32 v193, 16, v38
	v_and_b32_e32 v194, 0xffff0000, v38
	;; [unrolled: 2-line block ×4, first 2 shown]
	s_clause 0x1
	global_load_b128 v[35:38], v[35:36], off
	global_load_b128 v[39:42], v[39:40], off offset:2048
	s_waitcnt vmcnt(1)
	v_lshlrev_b32_e32 v203, 16, v35
	v_and_b32_e32 v204, 0xffff0000, v35
	v_add_co_u32 v35, vcc_lo, 0x21000, v32
	v_lshlrev_b32_e32 v205, 16, v36
	v_and_b32_e32 v206, 0xffff0000, v36
	v_add_co_ci_u32_e32 v36, vcc_lo, 0, v34, vcc_lo
	v_and_b32_e32 v208, 0xffff0000, v37
	s_waitcnt vmcnt(0)
	v_lshlrev_b32_e32 v211, 16, v39
	v_and_b32_e32 v212, 0xffff0000, v39
	v_add_co_u32 v39, vcc_lo, 0x22000, v32
	v_lshlrev_b32_e32 v213, 16, v40
	v_and_b32_e32 v214, 0xffff0000, v40
	v_add_co_ci_u32_e32 v40, vcc_lo, 0, v34, vcc_lo
	v_lshlrev_b32_e32 v207, 16, v37
	v_lshlrev_b32_e32 v209, 16, v38
	v_and_b32_e32 v210, 0xffff0000, v38
	v_lshlrev_b32_e32 v215, 16, v41
	v_and_b32_e32 v216, 0xffff0000, v41
	;; [unrolled: 2-line block ×3, first 2 shown]
	s_clause 0x1
	global_load_b128 v[35:38], v[35:36], off
	global_load_b128 v[39:42], v[39:40], off offset:2048
	s_waitcnt vmcnt(1)
	v_lshlrev_b32_e32 v219, 16, v35
	v_and_b32_e32 v220, 0xffff0000, v35
	v_add_co_u32 v35, vcc_lo, 0x24000, v32
	v_lshlrev_b32_e32 v221, 16, v36
	v_and_b32_e32 v222, 0xffff0000, v36
	v_add_co_ci_u32_e32 v36, vcc_lo, 0, v34, vcc_lo
	s_waitcnt vmcnt(0)
	v_lshlrev_b32_e32 v227, 16, v39
	v_and_b32_e32 v228, 0xffff0000, v39
	v_add_co_u32 v39, vcc_lo, 0x25000, v32
	v_lshlrev_b32_e32 v229, 16, v40
	v_and_b32_e32 v230, 0xffff0000, v40
	v_add_co_ci_u32_e32 v40, vcc_lo, 0, v34, vcc_lo
	v_lshlrev_b32_e32 v223, 16, v37
	v_and_b32_e32 v224, 0xffff0000, v37
	v_and_b32_e32 v226, 0xffff0000, v38
	v_lshlrev_b32_e32 v231, 16, v41
	v_and_b32_e32 v232, 0xffff0000, v41
	v_lshlrev_b32_e32 v233, 16, v42
	v_lshlrev_b32_e32 v225, 16, v38
	v_and_b32_e32 v234, 0xffff0000, v42
	s_clause 0x1
	global_load_b128 v[35:38], v[35:36], off
	global_load_b128 v[39:42], v[39:40], off offset:2048
	v_add_co_u32 v32, vcc_lo, 0x27000, v32
	v_add_co_ci_u32_e32 v33, vcc_lo, 0, v34, vcc_lo
	s_waitcnt vmcnt(1)
	v_lshlrev_b32_e32 v235, 16, v35
	v_and_b32_e32 v236, 0xffff0000, v35
	global_load_b128 v[32:35], v[32:33], off
	v_lshlrev_b32_e32 v237, 16, v36
	v_and_b32_e32 v238, 0xffff0000, v36
	v_lshlrev_b32_e32 v239, 16, v37
	v_and_b32_e32 v240, 0xffff0000, v37
	;; [unrolled: 2-line block ×3, first 2 shown]
	s_waitcnt vmcnt(1)
	v_lshlrev_b32_e32 v246, 16, v42
	v_and_b32_e32 v42, 0xffff0000, v42
	s_waitcnt vmcnt(0)
	v_lshlrev_b32_e32 v253, 16, v35
	v_and_b32_e32 v254, 0xffff0000, v35
	v_lshlrev_b32_e32 v35, 2, v31
	v_lshlrev_b32_e32 v247, 16, v32
	v_and_b32_e32 v248, 0xffff0000, v32
	v_lshlrev_b32_e32 v249, 16, v33
	v_and_b32_e32 v250, 0xffff0000, v33
	;; [unrolled: 2-line block ×3, first 2 shown]
	s_clause 0x1
	global_load_b128 v[31:34], v35, s[0:1]
	global_load_b128 v[35:38], v35, s[0:1] offset:16
	v_lshlrev_b32_e32 v125, 16, v48
	v_lshlrev_b32_e32 v129, 16, v64
	;; [unrolled: 1-line block ×9, first 2 shown]
	v_and_b32_e32 v39, 0xffff0000, v39
	v_lshlrev_b32_e32 v126, 16, v52
	v_lshlrev_b32_e32 v130, 16, v68
	s_waitcnt vmcnt(1)
	v_dual_fmac_f32 v10, v31, v179 :: v_dual_lshlrev_b32 v245, 16, v41
	v_fmac_f32_e32 v6, v31, v211
	v_fmac_f32_e32 v8, v31, v195
	;; [unrolled: 1-line block ×3, first 2 shown]
	s_delay_alu instid0(VALU_DEP_4)
	v_dual_fmac_f32 v3, v31, v235 :: v_dual_fmac_f32 v10, v32, v180
	v_fmac_f32_e32 v20, v31, v113
	v_dual_fmac_f32 v27, v31, v99 :: v_dual_fmac_f32 v6, v32, v212
	v_fmac_f32_e32 v16, v31, v117
	v_fmac_f32_e32 v26, v31, v107
	v_dual_fmac_f32 v3, v32, v236 :: v_dual_lshlrev_b32 v146, 16, v50
	s_delay_alu instid0(VALU_DEP_4) | instskip(SKIP_1) | instid1(VALU_DEP_2)
	v_dual_fmac_f32 v27, v32, v100 :: v_dual_lshlrev_b32 v108, 16, v43
	v_dual_fmac_f32 v1, v32, v248 :: v_dual_and_b32 v50, 0xffff0000, v50
	v_dual_fmac_f32 v8, v32, v196 :: v_dual_fmac_f32 v27, v33, v101
	s_delay_alu instid0(VALU_DEP_3) | instskip(SKIP_1) | instid1(VALU_DEP_3)
	v_dual_fmac_f32 v25, v31, v108 :: v_dual_lshlrev_b32 v110, 16, v51
	v_lshlrev_b32_e32 v112, 16, v59
	v_dual_fmac_f32 v8, v33, v197 :: v_dual_and_b32 v59, 0xffff0000, v59
	s_delay_alu instid0(VALU_DEP_3) | instskip(NEXT) | instid1(VALU_DEP_3)
	v_dual_fmac_f32 v23, v31, v110 :: v_dual_lshlrev_b32 v114, 16, v67
	v_fmac_f32_e32 v21, v31, v112
	v_and_b32_e32 v48, 0xffff0000, v48
	v_dual_fmac_f32 v1, v33, v249 :: v_dual_lshlrev_b32 v152, 16, v62
	v_fmac_f32_e32 v11, v31, v171
	s_delay_alu instid0(VALU_DEP_4) | instskip(SKIP_3) | instid1(VALU_DEP_3)
	v_fmac_f32_e32 v21, v32, v59
	v_and_b32_e32 v79, 0xffff0000, v79
	v_lshlrev_b32_e32 v143, 16, v45
	v_dual_fmac_f32 v1, v34, v250 :: v_dual_lshlrev_b32 v116, 16, v75
	v_dual_fmac_f32 v19, v31, v114 :: v_dual_fmac_f32 v16, v32, v79
	v_lshlrev_b32_e32 v121, 16, v95
	v_lshlrev_b32_e32 v109, 16, v47
	v_dual_fmac_f32 v6, v33, v213 :: v_dual_and_b32 v63, 0xffff0000, v63
	v_fmac_f32_e32 v2, v31, v243
	v_dual_fmac_f32 v16, v33, v133 :: v_dual_and_b32 v47, 0xffff0000, v47
	v_fmac_f32_e32 v11, v32, v172
	s_waitcnt vmcnt(0)
	v_dual_fmac_f32 v1, v35, v251 :: v_dual_and_b32 v80, 0xffff0000, v80
	v_dual_fmac_f32 v17, v31, v116 :: v_dual_lshlrev_b32 v118, 16, v83
	v_lshlrev_b32_e32 v120, 16, v91
	v_dual_fmac_f32 v6, v34, v214 :: v_dual_lshlrev_b32 v155, 16, v69
	v_dual_fmac_f32 v4, v31, v227 :: v_dual_lshlrev_b32 v161, 16, v81
	v_fmac_f32_e32 v11, v33, v173
	v_dual_fmac_f32 v16, v34, v80 :: v_dual_and_b32 v95, 0xffff0000, v95
	v_fmac_f32_e32 v1, v36, v252
	s_delay_alu instid0(VALU_DEP_4) | instskip(SKIP_1) | instid1(VALU_DEP_3)
	v_dual_fmac_f32 v4, v32, v228 :: v_dual_lshlrev_b32 v119, 16, v87
	v_and_b32_e32 v67, 0xffff0000, v67
	v_dual_fmac_f32 v1, v37, v253 :: v_dual_lshlrev_b32 v244, 16, v40
	v_fmac_f32_e32 v18, v31, v115
	v_fmac_f32_e32 v15, v31, v118
	;; [unrolled: 1-line block ×4, first 2 shown]
	v_lshlrev_b32_e32 v145, 16, v49
	v_dual_fmac_f32 v2, v32, v39 :: v_dual_and_b32 v49, 0xffff0000, v49
	v_dual_fmac_f32 v26, v32, v122 :: v_dual_and_b32 v71, 0xffff0000, v71
	v_fmac_f32_e32 v22, v31, v111
	v_fmac_f32_e32 v6, v35, v215
	s_delay_alu instid0(VALU_DEP_4) | instskip(SKIP_4) | instid1(VALU_DEP_4)
	v_fmac_f32_e32 v2, v33, v244
	v_dual_fmac_f32 v16, v35, v161 :: v_dual_and_b32 v55, 0xffff0000, v55
	v_dual_fmac_f32 v10, v33, v181 :: v_dual_lshlrev_b32 v137, 16, v96
	v_dual_fmac_f32 v14, v31, v119 :: v_dual_lshlrev_b32 v147, 16, v53
	v_fmac_f32_e32 v26, v33, v123
	v_fmac_f32_e32 v22, v32, v55
	;; [unrolled: 1-line block ×3, first 2 shown]
	v_and_b32_e32 v43, 0xffff0000, v43
	v_fmac_f32_e32 v18, v32, v71
	v_fmac_f32_e32 v4, v33, v229
	v_dual_fmac_f32 v19, v32, v67 :: v_dual_and_b32 v52, 0xffff0000, v52
	v_dual_fmac_f32 v22, v33, v127 :: v_dual_and_b32 v53, 0xffff0000, v53
	s_delay_alu instid0(VALU_DEP_4) | instskip(NEXT) | instid1(VALU_DEP_4)
	v_dual_fmac_f32 v18, v33, v131 :: v_dual_lshlrev_b32 v149, 16, v57
	v_dual_fmac_f32 v4, v34, v230 :: v_dual_and_b32 v69, 0xffff0000, v69
	v_and_b32_e32 v81, 0xffff0000, v81
	v_dual_fmac_f32 v5, v31, v219 :: v_dual_and_b32 v72, 0xffff0000, v72
	v_fmac_f32_e32 v19, v33, v130
	v_dual_fmac_f32 v20, v33, v129 :: v_dual_and_b32 v91, 0xffff0000, v91
	s_delay_alu instid0(VALU_DEP_3) | instskip(SKIP_2) | instid1(VALU_DEP_4)
	v_dual_fmac_f32 v25, v32, v43 :: v_dual_fmac_f32 v18, v34, v72
	v_dual_fmac_f32 v26, v34, v138 :: v_dual_and_b32 v75, 0xffff0000, v75
	v_and_b32_e32 v56, 0xffff0000, v56
	v_dual_fmac_f32 v13, v32, v91 :: v_dual_and_b32 v64, 0xffff0000, v64
	v_dual_fmac_f32 v24, v31, v109 :: v_dual_and_b32 v87, 0xffff0000, v87
	s_delay_alu instid0(VALU_DEP_2) | instskip(NEXT) | instid1(VALU_DEP_4)
	v_dual_fmac_f32 v17, v32, v75 :: v_dual_fmac_f32 v20, v34, v64
	v_dual_fmac_f32 v22, v34, v56 :: v_dual_and_b32 v83, 0xffff0000, v83
	v_fmac_f32_e32 v12, v32, v95
	v_fmac_f32_e32 v4, v35, v231
	;; [unrolled: 1-line block ×3, first 2 shown]
	v_dual_fmac_f32 v7, v31, v203 :: v_dual_lshlrev_b32 v128, 16, v60
	s_delay_alu instid0(VALU_DEP_4)
	v_dual_fmac_f32 v12, v33, v137 :: v_dual_and_b32 v51, 0xffff0000, v51
	v_dual_fmac_f32 v24, v32, v47 :: v_dual_lshlrev_b32 v135, 16, v88
	v_dual_fmac_f32 v3, v33, v237 :: v_dual_and_b32 v96, 0xffff0000, v96
	v_dual_fmac_f32 v14, v32, v87 :: v_dual_and_b32 v45, 0xffff0000, v45
	v_dual_fmac_f32 v7, v32, v204 :: v_dual_lshlrev_b32 v144, 16, v46
	v_and_b32_e32 v57, 0xffff0000, v57
	v_fmac_f32_e32 v22, v35, v149
	s_delay_alu instid0(VALU_DEP_4) | instskip(NEXT) | instid1(VALU_DEP_4)
	v_fmac_f32_e32 v14, v33, v135
	v_dual_fmac_f32 v7, v33, v205 :: v_dual_and_b32 v88, 0xffff0000, v88
	v_dual_fmac_f32 v17, v33, v132 :: v_dual_lshlrev_b32 v150, 16, v58
	s_delay_alu instid0(VALU_DEP_2)
	v_dual_fmac_f32 v14, v34, v88 :: v_dual_lshlrev_b32 v151, 16, v61
	v_dual_fmac_f32 v12, v34, v96 :: v_dual_and_b32 v61, 0xffff0000, v61
	v_fmac_f32_e32 v22, v36, v57
	v_lshlrev_b32_e32 v169, 16, v97
	v_dual_fmac_f32 v23, v32, v51 :: v_dual_and_b32 v44, 0xffff0000, v44
	v_fmac_f32_e32 v24, v33, v125
	s_delay_alu instid0(VALU_DEP_4) | instskip(NEXT) | instid1(VALU_DEP_4)
	v_fmac_f32_e32 v22, v37, v150
	v_fmac_f32_e32 v12, v35, v169
	v_dual_fmac_f32 v9, v31, v187 :: v_dual_and_b32 v68, 0xffff0000, v68
	v_dual_fmac_f32 v23, v33, v126 :: v_dual_and_b32 v60, 0xffff0000, v60
	v_dual_fmac_f32 v15, v32, v83 :: v_dual_lshlrev_b32 v148, 16, v54
	v_dual_fmac_f32 v25, v33, v124 :: v_dual_and_b32 v54, 0xffff0000, v54
	v_dual_fmac_f32 v21, v33, v128 :: v_dual_lshlrev_b32 v156, 16, v70
	v_dual_fmac_f32 v19, v34, v68 :: v_dual_and_b32 v70, 0xffff0000, v70
	v_fmac_f32_e32 v24, v34, v48
	v_dual_fmac_f32 v27, v34, v102 :: v_dual_lshlrev_b32 v136, 16, v92
	v_dual_fmac_f32 v5, v32, v220 :: v_dual_and_b32 v46, 0xffff0000, v46
	s_delay_alu instid0(VALU_DEP_4) | instskip(NEXT) | instid1(VALU_DEP_4)
	v_dual_fmac_f32 v19, v35, v155 :: v_dual_lshlrev_b32 v166, 16, v90
	v_fmac_f32_e32 v24, v35, v145
	s_delay_alu instid0(VALU_DEP_3) | instskip(SKIP_2) | instid1(VALU_DEP_4)
	v_dual_fmac_f32 v5, v33, v221 :: v_dual_and_b32 v92, 0xffff0000, v92
	v_dual_fmac_f32 v27, v35, v103 :: v_dual_and_b32 v62, 0xffff0000, v62
	v_dual_fmac_f32 v25, v34, v44 :: v_dual_lshlrev_b32 v154, 16, v66
	v_fmac_f32_e32 v24, v36, v49
	v_dual_fmac_f32 v19, v36, v69 :: v_dual_and_b32 v58, 0xffff0000, v58
	v_dual_fmac_f32 v13, v33, v136 :: v_dual_lshlrev_b32 v160, 16, v78
	v_dual_fmac_f32 v27, v36, v104 :: v_dual_and_b32 v78, 0xffff0000, v78
	v_lshlrev_b32_e32 v162, 16, v82
	v_dual_fmac_f32 v25, v35, v143 :: v_dual_and_b32 v82, 0xffff0000, v82
	v_fmac_f32_e32 v21, v34, v60
	v_fmac_f32_e32 v5, v34, v222
	;; [unrolled: 1-line block ×4, first 2 shown]
	v_dual_fmac_f32 v4, v36, v232 :: v_dual_lshlrev_b32 v167, 16, v93
	v_and_b32_e32 v93, 0xffff0000, v93
	s_delay_alu instid0(VALU_DEP_4) | instskip(SKIP_2) | instid1(VALU_DEP_3)
	v_dual_fmac_f32 v25, v36, v45 :: v_dual_fmac_f32 v24, v38, v50
	v_dual_fmac_f32 v5, v35, v223 :: v_dual_and_b32 v66, 0xffff0000, v66
	v_fmac_f32_e32 v23, v34, v52
	v_dual_fmac_f32 v25, v37, v144 :: v_dual_lshlrev_b32 v164, 16, v86
	s_delay_alu instid0(VALU_DEP_3) | instskip(SKIP_1) | instid1(VALU_DEP_3)
	v_dual_fmac_f32 v5, v36, v224 :: v_dual_and_b32 v86, 0xffff0000, v86
	v_dual_fmac_f32 v21, v35, v151 :: v_dual_and_b32 v40, 0xffff0000, v40
	v_fmac_f32_e32 v25, v38, v46
	v_lshlrev_b32_e32 v157, 16, v73
	v_fmac_f32_e32 v27, v37, v105
	v_fmac_f32_e32 v4, v37, v233
	v_dual_fmac_f32 v2, v34, v40 :: v_dual_fmac_f32 v5, v37, v225
	v_fmac_f32_e32 v3, v34, v238
	v_dual_fmac_f32 v10, v34, v182 :: v_dual_lshlrev_b32 v153, 16, v65
	v_dual_fmac_f32 v26, v35, v139 :: v_dual_and_b32 v73, 0xffff0000, v73
	v_fmac_f32_e32 v18, v35, v157
	s_delay_alu instid0(VALU_DEP_3)
	v_dual_fmac_f32 v20, v35, v153 :: v_dual_fmac_f32 v27, v38, v106
	v_fmac_f32_e32 v9, v32, v188
	v_fmac_f32_e32 v21, v36, v61
	v_dual_fmac_f32 v8, v34, v198 :: v_dual_and_b32 v65, 0xffff0000, v65
	v_dual_fmac_f32 v15, v33, v134 :: v_dual_and_b32 v76, 0xffff0000, v76
	v_lshlrev_b32_e32 v158, 16, v74
	v_fmac_f32_e32 v2, v35, v245
	v_dual_fmac_f32 v9, v33, v189 :: v_dual_and_b32 v84, 0xffff0000, v84
	v_fmac_f32_e32 v20, v36, v65
	v_and_b32_e32 v97, 0xffff0000, v97
	v_fmac_f32_e32 v18, v36, v73
	s_delay_alu instid0(VALU_DEP_4)
	v_dual_fmac_f32 v15, v34, v84 :: v_dual_and_b32 v74, 0xffff0000, v74
	v_dual_fmac_f32 v26, v36, v140 :: v_dual_lshlrev_b32 v163, 16, v85
	v_fmac_f32_e32 v17, v34, v76
	v_fmac_f32_e32 v3, v35, v239
	;; [unrolled: 1-line block ×7, first 2 shown]
	s_delay_alu instid0(VALU_DEP_4) | instskip(SKIP_4) | instid1(VALU_DEP_4)
	v_dual_fmac_f32 v11, v35, v175 :: v_dual_lshlrev_b32 v170, 16, v98
	v_dual_fmac_f32 v16, v37, v162 :: v_dual_lshlrev_b32 v159, 16, v77
	v_dual_fmac_f32 v10, v35, v183 :: v_dual_and_b32 v85, 0xffff0000, v85
	v_and_b32_e32 v90, 0xffff0000, v90
	v_dual_fmac_f32 v15, v35, v163 :: v_dual_lshlrev_b32 v168, 16, v94
	v_dual_fmac_f32 v17, v35, v159 :: v_dual_fmac_f32 v12, v37, v170
	v_dual_fmac_f32 v8, v35, v199 :: v_dual_and_b32 v77, 0xffff0000, v77
	v_fmac_f32_e32 v10, v36, v184
	s_delay_alu instid0(VALU_DEP_4) | instskip(SKIP_1) | instid1(VALU_DEP_4)
	v_fmac_f32_e32 v15, v36, v85
	v_fmac_f32_e32 v7, v34, v206
	;; [unrolled: 1-line block ×4, first 2 shown]
	v_dual_fmac_f32 v8, v36, v200 :: v_dual_lshlrev_b32 v165, 16, v89
	v_dual_fmac_f32 v6, v36, v216 :: v_dual_and_b32 v89, 0xffff0000, v89
	s_delay_alu instid0(VALU_DEP_2) | instskip(SKIP_2) | instid1(VALU_DEP_3)
	v_dual_fmac_f32 v13, v34, v92 :: v_dual_fmac_f32 v14, v35, v165
	v_fmac_f32_e32 v17, v37, v160
	v_dual_fmac_f32 v4, v38, v234 :: v_dual_and_b32 v41, 0xffff0000, v41
	v_dual_fmac_f32 v13, v35, v167 :: v_dual_and_b32 v94, 0xffff0000, v94
	s_delay_alu instid0(VALU_DEP_4) | instskip(NEXT) | instid1(VALU_DEP_3)
	v_fmac_f32_e32 v14, v36, v89
	v_dual_fmac_f32 v2, v36, v41 :: v_dual_fmac_f32 v23, v35, v147
	v_fmac_f32_e32 v26, v37, v141
	s_delay_alu instid0(VALU_DEP_3) | instskip(SKIP_1) | instid1(VALU_DEP_4)
	v_dual_fmac_f32 v13, v36, v93 :: v_dual_fmac_f32 v14, v37, v166
	v_dual_fmac_f32 v9, v35, v191 :: v_dual_and_b32 v98, 0xffff0000, v98
	v_dual_fmac_f32 v2, v37, v246 :: v_dual_fmac_f32 v7, v35, v207
	v_fmac_f32_e32 v23, v36, v53
	s_delay_alu instid0(VALU_DEP_4) | instskip(NEXT) | instid1(VALU_DEP_4)
	v_fmac_f32_e32 v13, v37, v168
	v_fmac_f32_e32 v9, v36, v192
	;; [unrolled: 1-line block ×13, first 2 shown]
	v_dual_fmac_f32 v3, v37, v241 :: v_dual_fmac_f32 v26, v38, v142
	v_fmac_f32_e32 v23, v38, v54
	v_fmac_f32_e32 v22, v38, v58
	;; [unrolled: 1-line block ×22, first 2 shown]
	s_cbranch_scc0 .LBB58_1
; %bb.2:
	v_mbcnt_lo_u32_b32 v31, -1, 0
	v_lshrrev_b32_e32 v35, 5, v0
	s_delay_alu instid0(VALU_DEP_2) | instskip(SKIP_1) | instid1(VALU_DEP_2)
	v_xor_b32_e32 v28, 16, v31
	v_xor_b32_e32 v29, 8, v31
	v_cmp_gt_i32_e32 vcc_lo, 32, v28
	v_cndmask_b32_e32 v28, v31, v28, vcc_lo
	s_delay_alu instid0(VALU_DEP_3) | instskip(SKIP_1) | instid1(VALU_DEP_1)
	v_cmp_gt_i32_e32 vcc_lo, 32, v29
	v_cndmask_b32_e32 v29, v31, v29, vcc_lo
	v_lshlrev_b32_e32 v29, 2, v29
	s_delay_alu instid0(VALU_DEP_4) | instskip(SKIP_4) | instid1(VALU_DEP_1)
	v_lshlrev_b32_e32 v28, 2, v28
	ds_bpermute_b32 v30, v28, v27
	s_waitcnt lgkmcnt(0)
	v_add_f32_e32 v30, v27, v30
	v_xor_b32_e32 v27, 4, v31
	v_cmp_gt_i32_e32 vcc_lo, 32, v27
	v_cndmask_b32_e32 v27, v31, v27, vcc_lo
	s_delay_alu instid0(VALU_DEP_1)
	v_lshlrev_b32_e32 v27, 2, v27
	ds_bpermute_b32 v32, v29, v30
	s_waitcnt lgkmcnt(0)
	v_add_f32_e32 v32, v30, v32
	v_xor_b32_e32 v30, 2, v31
	ds_bpermute_b32 v33, v27, v32
	v_cmp_gt_i32_e32 vcc_lo, 32, v30
	s_waitcnt lgkmcnt(0)
	v_dual_cndmask_b32 v30, v31, v30 :: v_dual_add_f32 v33, v32, v33
	v_xor_b32_e32 v32, 1, v31
	s_delay_alu instid0(VALU_DEP_1) | instskip(NEXT) | instid1(VALU_DEP_3)
	v_cmp_gt_i32_e32 vcc_lo, 32, v32
	v_dual_cndmask_b32 v31, v31, v32 :: v_dual_lshlrev_b32 v30, 2, v30
	ds_bpermute_b32 v34, v30, v33
	v_lshlrev_b32_e32 v32, 2, v31
	v_and_b32_e32 v31, 31, v0
	s_delay_alu instid0(VALU_DEP_1)
	v_cmp_eq_u32_e32 vcc_lo, 0, v31
	v_lshlrev_b32_e32 v31, 2, v35
	s_waitcnt lgkmcnt(0)
	v_add_f32_e32 v33, v33, v34
	ds_bpermute_b32 v34, v32, v33
	s_and_saveexec_b32 s0, vcc_lo
	s_cbranch_execz .LBB58_4
; %bb.3:
	s_waitcnt lgkmcnt(0)
	v_add_f32_e32 v33, v33, v34
	ds_store_b32 v31, v33
.LBB58_4:
	s_or_b32 exec_lo, exec_lo, s0
	ds_bpermute_b32 v33, v28, v26
	s_waitcnt lgkmcnt(0)
	v_add_f32_e32 v26, v26, v33
	ds_bpermute_b32 v33, v29, v26
	s_waitcnt lgkmcnt(0)
	v_add_f32_e32 v26, v26, v33
	ds_bpermute_b32 v33, v27, v26
	s_waitcnt lgkmcnt(0)
	v_add_f32_e32 v26, v26, v33
	ds_bpermute_b32 v33, v30, v26
	s_waitcnt lgkmcnt(0)
	v_add_f32_e32 v26, v26, v33
	ds_bpermute_b32 v33, v32, v26
	s_and_saveexec_b32 s0, vcc_lo
	s_cbranch_execz .LBB58_6
; %bb.5:
	s_waitcnt lgkmcnt(0)
	v_add_f32_e32 v26, v26, v33
	ds_store_b32 v31, v26 offset:16
.LBB58_6:
	s_or_b32 exec_lo, exec_lo, s0
	ds_bpermute_b32 v26, v28, v25
	s_waitcnt lgkmcnt(0)
	v_add_f32_e32 v25, v25, v26
	ds_bpermute_b32 v26, v29, v25
	s_waitcnt lgkmcnt(0)
	v_add_f32_e32 v25, v25, v26
	ds_bpermute_b32 v26, v27, v25
	s_waitcnt lgkmcnt(0)
	v_add_f32_e32 v25, v25, v26
	ds_bpermute_b32 v26, v30, v25
	s_waitcnt lgkmcnt(0)
	v_add_f32_e32 v25, v25, v26
	ds_bpermute_b32 v26, v32, v25
	s_and_saveexec_b32 s0, vcc_lo
	s_cbranch_execz .LBB58_8
; %bb.7:
	s_waitcnt lgkmcnt(0)
	v_add_f32_e32 v25, v25, v26
	ds_store_b32 v31, v25 offset:32
.LBB58_8:
	;; [unrolled: 21-line block ×26, first 2 shown]
	s_or_b32 exec_lo, exec_lo, s0
	s_waitcnt lgkmcnt(0)
	s_barrier
	buffer_gl0_inv
	s_mov_b32 s0, exec_lo
	v_cmpx_eq_u32_e32 0, v0
	s_cbranch_execz .LBB58_58
; %bb.57:
	v_mov_b32_e32 v36, 0
	s_ashr_i32 s3, s2, 31
	ds_load_b128 v[0:3], v36
	ds_load_b128 v[4:7], v36 offset:16
	ds_load_b128 v[8:11], v36 offset:32
	ds_load_b128 v[12:15], v36 offset:48
	ds_load_b128 v[16:19], v36 offset:64
	ds_load_b128 v[20:23], v36 offset:80
	ds_load_b128 v[24:27], v36 offset:96
	ds_load_b128 v[28:31], v36 offset:112
	s_lshl_b64 s[0:1], s[2:3], 2
	v_mov_b32_e32 v41, 0x4000
	s_add_u32 s0, s4, s0
	s_addc_u32 s1, s5, s1
	s_waitcnt lgkmcnt(4)
	v_add_f32_e32 v12, 0, v12
	v_add_f32_e32 v0, 0, v0
	s_waitcnt lgkmcnt(2)
	v_add_f32_e32 v20, 0, v20
	v_add_f32_e32 v4, 0, v4
	v_add_f32_e32 v16, 0, v16
	s_waitcnt lgkmcnt(0)
	v_add_f32_e32 v28, 0, v28
	v_add_f32_e32 v8, 0, v8
	v_add_f32_e32 v0, v0, v1
	v_add_f32_e32 v1, v4, v5
	ds_load_b128 v[32:35], v36 offset:128
	v_add_f32_e32 v0, v0, v2
	v_add_f32_e32 v1, v1, v6
	;; [unrolled: 1-line block ×8, first 2 shown]
	s_delay_alu instid0(VALU_DEP_4) | instskip(SKIP_3) | instid1(VALU_DEP_4)
	v_dual_add_f32 v21, v1, v7 :: v_dual_add_f32 v2, v4, v10
	v_add_f32_e32 v4, v5, v14
	v_dual_add_f32 v5, v8, v18 :: v_dual_add_f32 v24, 0, v24
	v_add_f32_e32 v8, v9, v22
	v_add_f32_e32 v22, v2, v11
	ds_load_b128 v[0:3], v36 offset:144
	v_dual_add_f32 v11, v13, v30 :: v_dual_add_f32 v12, v24, v25
	v_add_f32_e32 v25, v5, v19
	v_add_f32_e32 v23, v8, v23
	;; [unrolled: 1-line block ×3, first 2 shown]
	ds_load_b128 v[4:7], v36 offset:160
	v_add_f32_e32 v28, v11, v31
	s_waitcnt lgkmcnt(1)
	v_add_f32_e32 v0, 0, v0
	s_delay_alu instid0(VALU_DEP_1) | instskip(SKIP_2) | instid1(VALU_DEP_2)
	v_add_f32_e32 v0, v0, v1
	s_waitcnt lgkmcnt(0)
	v_add_f32_e32 v4, 0, v4
	v_add_f32_e32 v0, v0, v2
	s_delay_alu instid0(VALU_DEP_2) | instskip(NEXT) | instid1(VALU_DEP_1)
	v_add_f32_e32 v1, v4, v5
	v_add_f32_e32 v1, v1, v6
	v_dual_add_f32 v9, v12, v26 :: v_dual_add_f32 v10, 0, v32
	s_delay_alu instid0(VALU_DEP_1)
	v_dual_add_f32 v27, v9, v27 :: v_dual_add_f32 v16, v10, v33
	ds_load_b128 v[8:11], v36 offset:176
	ds_load_b128 v[12:15], v36 offset:192
	v_mov_b32_e32 v33, 0x2000
	v_add_f32_e32 v29, v16, v34
	ds_load_b128 v[16:19], v36 offset:208
	v_add_f32_e32 v34, v0, v3
	v_add_f32_e32 v32, v29, v35
	s_waitcnt lgkmcnt(2)
	v_dual_add_f32 v35, v1, v7 :: v_dual_add_f32 v4, 0, v8
	s_waitcnt lgkmcnt(1)
	s_delay_alu instid0(VALU_DEP_1) | instskip(SKIP_1) | instid1(VALU_DEP_1)
	v_dual_add_f32 v5, 0, v12 :: v_dual_add_f32 v2, v4, v9
	s_waitcnt lgkmcnt(0)
	v_dual_add_f32 v4, v5, v13 :: v_dual_add_f32 v5, 0, v16
	v_mov_b32_e32 v26, 0x1000
	s_delay_alu instid0(VALU_DEP_3) | instskip(NEXT) | instid1(VALU_DEP_3)
	v_add_f32_e32 v8, v2, v10
	v_add_f32_e32 v9, v4, v14
	s_clause 0x7
	global_store_b32 v36, v20, s[0:1]
	global_store_b32 v36, v21, s[0:1] offset:1024
	global_store_b32 v36, v22, s[0:1] offset:2048
	;; [unrolled: 1-line block ×3, first 2 shown]
	global_store_b32 v26, v25, s[0:1]
	global_store_b32 v26, v23, s[0:1] offset:1024
	global_store_b32 v26, v27, s[0:1] offset:2048
	;; [unrolled: 1-line block ×3, first 2 shown]
	ds_load_b128 v[20:23], v36 offset:224
	ds_load_b128 v[24:27], v36 offset:240
	;; [unrolled: 1-line block ×3, first 2 shown]
	v_add_f32_e32 v10, v5, v17
	ds_load_b128 v[0:3], v36 offset:272
	ds_load_b128 v[4:7], v36 offset:288
	s_waitcnt lgkmcnt(3)
	v_add_f32_e32 v13, 0, v24
	s_waitcnt lgkmcnt(1)
	v_add_f32_e32 v0, 0, v0
	;; [unrolled: 2-line block ×3, first 2 shown]
	s_delay_alu instid0(VALU_DEP_2) | instskip(NEXT) | instid1(VALU_DEP_2)
	v_add_f32_e32 v0, v0, v1
	v_add_f32_e32 v1, v4, v5
	s_delay_alu instid0(VALU_DEP_2) | instskip(NEXT) | instid1(VALU_DEP_2)
	v_add_f32_e32 v0, v0, v2
	v_dual_add_f32 v1, v1, v6 :: v_dual_add_f32 v12, 0, v20
	v_dual_add_f32 v20, v8, v11 :: v_dual_add_f32 v11, 0, v28
	s_delay_alu instid0(VALU_DEP_3) | instskip(NEXT) | instid1(VALU_DEP_3)
	v_add_f32_e32 v0, v0, v3
	v_dual_add_f32 v1, v1, v7 :: v_dual_add_f32 v8, v12, v21
	v_add_f32_e32 v21, v9, v15
	v_dual_add_f32 v9, v10, v18 :: v_dual_add_f32 v10, v13, v25
	s_delay_alu instid0(VALU_DEP_3) | instskip(SKIP_1) | instid1(VALU_DEP_3)
	v_dual_add_f32 v17, v11, v29 :: v_dual_add_f32 v8, v8, v22
	v_mov_b32_e32 v22, 0x3000
	v_add_f32_e32 v24, v9, v19
	s_delay_alu instid0(VALU_DEP_4) | instskip(NEXT) | instid1(VALU_DEP_4)
	v_add_f32_e32 v16, v10, v26
	v_dual_add_f32 v26, v17, v30 :: v_dual_add_f32 v23, v8, v23
	ds_load_b128 v[8:11], v36 offset:304
	ds_load_b128 v[12:15], v36 offset:320
	v_dual_mov_b32 v6, 0x5000 :: v_dual_add_f32 v25, v16, v27
	ds_load_b128 v[16:19], v36 offset:336
	v_add_f32_e32 v40, v26, v31
	s_waitcnt lgkmcnt(2)
	v_add_f32_e32 v4, 0, v8
	s_waitcnt lgkmcnt(1)
	;; [unrolled: 2-line block ×3, first 2 shown]
	v_add_f32_e32 v8, 0, v16
	v_add_f32_e32 v4, v4, v9
	s_delay_alu instid0(VALU_DEP_3) | instskip(NEXT) | instid1(VALU_DEP_3)
	v_add_f32_e32 v5, v5, v13
	v_add_f32_e32 v2, v8, v17
	s_delay_alu instid0(VALU_DEP_3) | instskip(NEXT) | instid1(VALU_DEP_3)
	v_add_f32_e32 v4, v4, v10
	v_add_f32_e32 v5, v5, v14
	s_delay_alu instid0(VALU_DEP_2)
	v_dual_add_f32 v2, v2, v18 :: v_dual_add_f32 v3, v4, v11
	v_mov_b32_e32 v11, 0x6000
	s_clause 0x7
	global_store_b32 v33, v32, s[0:1]
	global_store_b32 v33, v34, s[0:1] offset:1024
	global_store_b32 v33, v35, s[0:1] offset:2048
	;; [unrolled: 1-line block ×3, first 2 shown]
	global_store_b32 v22, v21, s[0:1]
	global_store_b32 v22, v24, s[0:1] offset:1024
	global_store_b32 v22, v23, s[0:1] offset:2048
	;; [unrolled: 1-line block ×3, first 2 shown]
	ds_load_b128 v[20:23], v36 offset:352
	ds_load_b128 v[24:27], v36 offset:368
	;; [unrolled: 1-line block ×5, first 2 shown]
	v_add_f32_e32 v4, v5, v15
	s_waitcnt lgkmcnt(4)
	v_dual_add_f32 v2, v2, v19 :: v_dual_add_f32 v5, 0, v20
	s_waitcnt lgkmcnt(3)
	v_add_f32_e32 v7, 0, v24
	s_waitcnt lgkmcnt(2)
	v_add_f32_e32 v8, 0, v28
	;; [unrolled: 2-line block ×3, first 2 shown]
	s_waitcnt lgkmcnt(0)
	v_dual_add_f32 v10, 0, v36 :: v_dual_add_f32 v5, v5, v21
	v_add_f32_e32 v7, v7, v25
	v_add_f32_e32 v8, v8, v29
	;; [unrolled: 1-line block ×3, first 2 shown]
	s_delay_alu instid0(VALU_DEP_4) | instskip(NEXT) | instid1(VALU_DEP_4)
	v_dual_add_f32 v10, v10, v37 :: v_dual_add_f32 v5, v5, v22
	v_add_f32_e32 v7, v7, v26
	s_delay_alu instid0(VALU_DEP_4) | instskip(NEXT) | instid1(VALU_DEP_4)
	v_add_f32_e32 v8, v8, v30
	v_add_f32_e32 v9, v9, v34
	s_delay_alu instid0(VALU_DEP_4) | instskip(NEXT) | instid1(VALU_DEP_4)
	v_dual_add_f32 v10, v10, v38 :: v_dual_add_f32 v5, v5, v23
	v_add_f32_e32 v7, v7, v27
	s_delay_alu instid0(VALU_DEP_4) | instskip(NEXT) | instid1(VALU_DEP_4)
	v_add_f32_e32 v8, v8, v31
	v_add_f32_e32 v9, v9, v35
	s_delay_alu instid0(VALU_DEP_4)
	v_add_f32_e32 v10, v10, v39
	s_clause 0xa
	global_store_b32 v41, v40, s[0:1]
	global_store_b32 v41, v0, s[0:1] offset:1024
	global_store_b32 v41, v1, s[0:1] offset:2048
	global_store_b32 v41, v3, s[0:1] offset:3072
	global_store_b32 v6, v4, s[0:1]
	global_store_b32 v6, v2, s[0:1] offset:1024
	global_store_b32 v6, v5, s[0:1] offset:2048
	;; [unrolled: 1-line block ×3, first 2 shown]
	global_store_b32 v11, v8, s[0:1]
	global_store_b32 v11, v9, s[0:1] offset:1024
	global_store_b32 v11, v10, s[0:1] offset:2048
.LBB58_58:
	s_nop 0
	s_sendmsg sendmsg(MSG_DEALLOC_VGPRS)
	s_endpgm
	.section	.rodata,"a",@progbits
	.p2align	6, 0x0
	.amdhsa_kernel _Z23fp32_router_gemm_kernelI14__hip_bfloat16Li128ELi27ELi256ELi3072EEvPfPKT_PKf
		.amdhsa_group_segment_fixed_size 432
		.amdhsa_private_segment_fixed_size 0
		.amdhsa_kernarg_size 24
		.amdhsa_user_sgpr_count 15
		.amdhsa_user_sgpr_dispatch_ptr 0
		.amdhsa_user_sgpr_queue_ptr 0
		.amdhsa_user_sgpr_kernarg_segment_ptr 1
		.amdhsa_user_sgpr_dispatch_id 0
		.amdhsa_user_sgpr_private_segment_size 0
		.amdhsa_wavefront_size32 1
		.amdhsa_uses_dynamic_stack 0
		.amdhsa_enable_private_segment 0
		.amdhsa_system_sgpr_workgroup_id_x 1
		.amdhsa_system_sgpr_workgroup_id_y 0
		.amdhsa_system_sgpr_workgroup_id_z 0
		.amdhsa_system_sgpr_workgroup_info 0
		.amdhsa_system_vgpr_workitem_id 0
		.amdhsa_next_free_vgpr 255
		.amdhsa_next_free_sgpr 16
		.amdhsa_reserve_vcc 1
		.amdhsa_float_round_mode_32 0
		.amdhsa_float_round_mode_16_64 0
		.amdhsa_float_denorm_mode_32 3
		.amdhsa_float_denorm_mode_16_64 3
		.amdhsa_dx10_clamp 1
		.amdhsa_ieee_mode 1
		.amdhsa_fp16_overflow 0
		.amdhsa_workgroup_processor_mode 1
		.amdhsa_memory_ordered 1
		.amdhsa_forward_progress 0
		.amdhsa_shared_vgpr_count 0
		.amdhsa_exception_fp_ieee_invalid_op 0
		.amdhsa_exception_fp_denorm_src 0
		.amdhsa_exception_fp_ieee_div_zero 0
		.amdhsa_exception_fp_ieee_overflow 0
		.amdhsa_exception_fp_ieee_underflow 0
		.amdhsa_exception_fp_ieee_inexact 0
		.amdhsa_exception_int_div_zero 0
	.end_amdhsa_kernel
	.section	.text._Z23fp32_router_gemm_kernelI14__hip_bfloat16Li128ELi27ELi256ELi3072EEvPfPKT_PKf,"axG",@progbits,_Z23fp32_router_gemm_kernelI14__hip_bfloat16Li128ELi27ELi256ELi3072EEvPfPKT_PKf,comdat
.Lfunc_end58:
	.size	_Z23fp32_router_gemm_kernelI14__hip_bfloat16Li128ELi27ELi256ELi3072EEvPfPKT_PKf, .Lfunc_end58-_Z23fp32_router_gemm_kernelI14__hip_bfloat16Li128ELi27ELi256ELi3072EEvPfPKT_PKf
                                        ; -- End function
	.section	.AMDGPU.csdata,"",@progbits
; Kernel info:
; codeLenInByte = 7240
; NumSgprs: 18
; NumVgprs: 255
; ScratchSize: 0
; MemoryBound: 0
; FloatMode: 240
; IeeeMode: 1
; LDSByteSize: 432 bytes/workgroup (compile time only)
; SGPRBlocks: 2
; VGPRBlocks: 31
; NumSGPRsForWavesPerEU: 18
; NumVGPRsForWavesPerEU: 255
; Occupancy: 5
; WaveLimiterHint : 1
; COMPUTE_PGM_RSRC2:SCRATCH_EN: 0
; COMPUTE_PGM_RSRC2:USER_SGPR: 15
; COMPUTE_PGM_RSRC2:TRAP_HANDLER: 0
; COMPUTE_PGM_RSRC2:TGID_X_EN: 1
; COMPUTE_PGM_RSRC2:TGID_Y_EN: 0
; COMPUTE_PGM_RSRC2:TGID_Z_EN: 0
; COMPUTE_PGM_RSRC2:TIDIG_COMP_CNT: 0
	.section	.text._Z23fp32_router_gemm_kernelI14__hip_bfloat16Li128ELi28ELi256ELi3072EEvPfPKT_PKf,"axG",@progbits,_Z23fp32_router_gemm_kernelI14__hip_bfloat16Li128ELi28ELi256ELi3072EEvPfPKT_PKf,comdat
	.protected	_Z23fp32_router_gemm_kernelI14__hip_bfloat16Li128ELi28ELi256ELi3072EEvPfPKT_PKf ; -- Begin function _Z23fp32_router_gemm_kernelI14__hip_bfloat16Li128ELi28ELi256ELi3072EEvPfPKT_PKf
	.globl	_Z23fp32_router_gemm_kernelI14__hip_bfloat16Li128ELi28ELi256ELi3072EEvPfPKT_PKf
	.p2align	8
	.type	_Z23fp32_router_gemm_kernelI14__hip_bfloat16Li128ELi28ELi256ELi3072EEvPfPKT_PKf,@function
_Z23fp32_router_gemm_kernelI14__hip_bfloat16Li128ELi28ELi256ELi3072EEvPfPKT_PKf: ; @_Z23fp32_router_gemm_kernelI14__hip_bfloat16Li128ELi28ELi256ELi3072EEvPfPKT_PKf
; %bb.0:
	scratch_store_b32 off, v0, off offset:32 ; 4-byte Folded Spill
	s_clause 0x1
	s_load_b128 s[4:7], s[0:1], 0x0
	s_load_b64 s[0:1], s[0:1], 0x10
	v_dual_mov_b32 v27, 0 :: v_dual_lshlrev_b32 v0, 3, v0
	s_mul_i32 s8, s15, 0xc00
	v_dual_mov_b32 v28, 0 :: v_dual_mov_b32 v25, 0
	s_delay_alu instid0(VALU_DEP_2)
	v_or_b32_e32 v1, 0x400, v0
	s_ashr_i32 s9, s8, 31
	v_dual_mov_b32 v26, 0 :: v_dual_mov_b32 v23, 0
	s_lshl_b64 s[8:9], s[8:9], 2
	s_clause 0x1
	scratch_store_b32 off, v1, off offset:24
	scratch_store_b32 off, v0, off offset:20
	v_or_b32_e32 v0, 0x800, v0
	v_dual_mov_b32 v24, 0 :: v_dual_mov_b32 v21, 0
	v_dual_mov_b32 v22, 0 :: v_dual_mov_b32 v19, 0
	;; [unrolled: 1-line block ×11, first 2 shown]
	v_mov_b32_e32 v2, 0
	s_waitcnt lgkmcnt(0)
	s_add_u32 s0, s0, s8
	s_mov_b32 s2, s15
	s_addc_u32 s1, s1, s9
	s_mov_b64 s[8:9], 0
	scratch_store_b32 off, v0, off offset:28 ; 4-byte Folded Spill
.LBB59_1:                               ; =>This Inner Loop Header: Depth=1
	s_clause 0x1
	scratch_load_b32 v0, off, off offset:20
	scratch_load_b32 v29, off, off offset:24
	s_cmp_eq_u32 s8, 1
	s_cselect_b32 vcc_lo, -1, 0
	s_cmp_eq_u32 s8, 2
	s_waitcnt vmcnt(0)
	v_cndmask_b32_e32 v32, v0, v29, vcc_lo
	scratch_load_b32 v0, off, off offset:28 ; 4-byte Folded Reload
	s_cselect_b32 vcc_lo, -1, 0
	s_add_u32 s8, s8, 1
	s_addc_u32 s9, s9, 0
	s_cmp_eq_u32 s8, 3
	s_waitcnt vmcnt(0)
	v_cndmask_b32_e32 v32, v32, v0, vcc_lo
	s_delay_alu instid0(VALU_DEP_1) | instskip(NEXT) | instid1(VALU_DEP_1)
	v_lshlrev_b32_e32 v34, 1, v32
	v_add_co_u32 v33, s3, s6, v34
	s_delay_alu instid0(VALU_DEP_1)
	v_add_co_ci_u32_e64 v35, null, s7, 0, s3
	global_load_b128 v[36:39], v34, s[6:7]
	v_add_co_u32 v40, vcc_lo, 0x1000, v33
	v_add_co_ci_u32_e32 v41, vcc_lo, 0, v35, vcc_lo
	v_add_co_u32 v44, vcc_lo, 0x3000, v33
	v_add_co_ci_u32_e32 v45, vcc_lo, 0, v35, vcc_lo
	;; [unrolled: 2-line block ×15, first 2 shown]
	s_clause 0xe
	global_load_b128 v[40:43], v[40:41], off offset:2048
	global_load_b128 v[44:47], v[44:45], off
	global_load_b128 v[48:51], v[48:49], off offset:2048
	global_load_b128 v[52:55], v[52:53], off
	;; [unrolled: 2-line block ×7, first 2 shown]
	global_load_b128 v[96:99], v[96:97], off offset:2048
	s_waitcnt vmcnt(15)
	v_and_b32_e32 v105, 0xffff0000, v38
	s_waitcnt vmcnt(14)
	v_and_b32_e32 v123, 0xffff0000, v40
	v_lshlrev_b32_e32 v108, 16, v40
	s_waitcnt vmcnt(12)
	v_lshlrev_b32_e32 v126, 16, v49
	v_lshlrev_b32_e32 v124, 16, v41
	s_waitcnt vmcnt(10)
	v_lshlrev_b32_e32 v112, 16, v56
	v_and_b32_e32 v139, 0xffff0000, v41
	s_waitcnt vmcnt(8)
	v_lshlrev_b32_e32 v114, 16, v64
	v_lshlrev_b32_e32 v0, 16, v36
	s_waitcnt vmcnt(6)
	v_lshlrev_b32_e32 v116, 16, v72
	v_lshlrev_b32_e32 v104, 16, v38
	;; [unrolled: 3-line block ×3, first 2 shown]
	scratch_store_b32 off, v0, off          ; 4-byte Folded Spill
	v_and_b32_e32 v0, 0xffff0000, v36
	v_add_co_u32 v36, vcc_lo, 0x18000, v33
	s_waitcnt vmcnt(0)
	v_lshlrev_b32_e32 v122, 16, v96
	v_lshlrev_b32_e32 v120, 16, v88
	scratch_store_b32 off, v0, off offset:4 ; 4-byte Folded Spill
	v_lshlrev_b32_e32 v0, 16, v37
	v_lshlrev_b32_e32 v106, 16, v39
	v_and_b32_e32 v141, 0xffff0000, v42
	v_lshlrev_b32_e32 v142, 16, v43
	v_and_b32_e32 v143, 0xffff0000, v43
	scratch_store_b32 off, v0, off offset:8 ; 4-byte Folded Spill
	v_and_b32_e32 v0, 0xffff0000, v37
	v_add_co_ci_u32_e32 v37, vcc_lo, 0, v35, vcc_lo
	v_add_co_u32 v40, vcc_lo, 0x19000, v33
	scratch_store_b32 off, v0, off offset:16 ; 4-byte Folded Spill
	v_and_b32_e32 v0, 0xffff0000, v39
	v_add_co_ci_u32_e32 v41, vcc_lo, 0, v35, vcc_lo
	v_and_b32_e32 v102, 0xffff0000, v46
	v_lshlrev_b32_e32 v125, 16, v45
	scratch_store_b32 off, v0, off offset:12 ; 4-byte Folded Spill
	s_clause 0x1
	global_load_b128 v[36:39], v[36:37], off
	global_load_b128 v[40:43], v[40:41], off offset:2048
	v_lshlrev_b32_e32 v144, 16, v46
	v_lshlrev_b32_e32 v109, 16, v44
	s_waitcnt vmcnt(1)
	v_lshlrev_b32_e32 v172, 16, v36
	v_and_b32_e32 v175, 0xffff0000, v37
	v_and_b32_e32 v173, 0xffff0000, v36
	v_add_co_u32 v36, vcc_lo, 0x1b000, v33
	v_lshlrev_b32_e32 v174, 16, v37
	v_add_co_ci_u32_e32 v37, vcc_lo, 0, v35, vcc_lo
	s_waitcnt vmcnt(0)
	v_lshlrev_b32_e32 v180, 16, v40
	v_and_b32_e32 v181, 0xffff0000, v40
	v_add_co_u32 v40, vcc_lo, 0x1c000, v33
	v_lshlrev_b32_e32 v182, 16, v41
	v_and_b32_e32 v183, 0xffff0000, v41
	v_add_co_ci_u32_e32 v41, vcc_lo, 0, v35, vcc_lo
	v_lshlrev_b32_e32 v176, 16, v38
	v_and_b32_e32 v177, 0xffff0000, v38
	v_lshlrev_b32_e32 v178, 16, v39
	v_and_b32_e32 v179, 0xffff0000, v39
	;; [unrolled: 2-line block ×4, first 2 shown]
	s_clause 0x1
	global_load_b128 v[36:39], v[36:37], off
	global_load_b128 v[40:43], v[40:41], off offset:2048
	v_lshlrev_b32_e32 v145, 16, v47
	s_waitcnt vmcnt(1)
	v_lshlrev_b32_e32 v188, 16, v36
	v_and_b32_e32 v189, 0xffff0000, v36
	v_add_co_u32 v36, vcc_lo, 0x1e000, v33
	v_lshlrev_b32_e32 v190, 16, v37
	v_lshlrev_b32_e32 v192, 16, v38
	v_and_b32_e32 v191, 0xffff0000, v37
	v_add_co_ci_u32_e32 v37, vcc_lo, 0, v35, vcc_lo
	s_waitcnt vmcnt(0)
	v_lshlrev_b32_e32 v196, 16, v40
	v_and_b32_e32 v197, 0xffff0000, v40
	v_add_co_u32 v40, vcc_lo, 0x1f000, v33
	v_lshlrev_b32_e32 v198, 16, v41
	v_and_b32_e32 v199, 0xffff0000, v41
	v_add_co_ci_u32_e32 v41, vcc_lo, 0, v35, vcc_lo
	v_and_b32_e32 v193, 0xffff0000, v38
	v_lshlrev_b32_e32 v194, 16, v39
	v_and_b32_e32 v195, 0xffff0000, v39
	v_lshlrev_b32_e32 v200, 16, v42
	;; [unrolled: 2-line block ×3, first 2 shown]
	v_and_b32_e32 v203, 0xffff0000, v43
	s_clause 0x1
	global_load_b128 v[36:39], v[36:37], off
	global_load_b128 v[40:43], v[40:41], off offset:2048
	v_and_b32_e32 v103, 0xffff0000, v47
	s_waitcnt vmcnt(1)
	v_lshlrev_b32_e32 v204, 16, v36
	v_and_b32_e32 v205, 0xffff0000, v36
	v_add_co_u32 v36, vcc_lo, 0x21000, v33
	v_lshlrev_b32_e32 v206, 16, v37
	v_and_b32_e32 v207, 0xffff0000, v37
	v_add_co_ci_u32_e32 v37, vcc_lo, 0, v35, vcc_lo
	s_waitcnt vmcnt(0)
	v_lshlrev_b32_e32 v212, 16, v40
	v_and_b32_e32 v213, 0xffff0000, v40
	v_add_co_u32 v40, vcc_lo, 0x22000, v33
	v_lshlrev_b32_e32 v214, 16, v41
	v_and_b32_e32 v215, 0xffff0000, v41
	v_add_co_ci_u32_e32 v41, vcc_lo, 0, v35, vcc_lo
	v_lshlrev_b32_e32 v208, 16, v38
	v_and_b32_e32 v209, 0xffff0000, v38
	v_lshlrev_b32_e32 v210, 16, v39
	v_and_b32_e32 v211, 0xffff0000, v39
	;; [unrolled: 2-line block ×4, first 2 shown]
	s_clause 0x1
	global_load_b128 v[36:39], v[36:37], off
	global_load_b128 v[40:43], v[40:41], off offset:2048
	s_waitcnt vmcnt(1)
	v_lshlrev_b32_e32 v220, 16, v36
	v_and_b32_e32 v225, 0xffff0000, v38
	v_and_b32_e32 v221, 0xffff0000, v36
	v_add_co_u32 v36, vcc_lo, 0x24000, v33
	v_lshlrev_b32_e32 v222, 16, v37
	v_and_b32_e32 v223, 0xffff0000, v37
	v_add_co_ci_u32_e32 v37, vcc_lo, 0, v35, vcc_lo
	s_waitcnt vmcnt(0)
	v_and_b32_e32 v229, 0xffff0000, v40
	v_lshlrev_b32_e32 v234, 16, v43
	v_lshlrev_b32_e32 v228, 16, v40
	v_add_co_u32 v40, vcc_lo, 0x25000, v33
	v_lshlrev_b32_e32 v230, 16, v41
	v_and_b32_e32 v231, 0xffff0000, v41
	v_add_co_ci_u32_e32 v41, vcc_lo, 0, v35, vcc_lo
	v_lshlrev_b32_e32 v224, 16, v38
	v_lshlrev_b32_e32 v226, 16, v39
	v_and_b32_e32 v227, 0xffff0000, v39
	v_lshlrev_b32_e32 v232, 16, v42
	v_and_b32_e32 v233, 0xffff0000, v42
	v_and_b32_e32 v235, 0xffff0000, v43
	s_clause 0x1
	global_load_b128 v[36:39], v[36:37], off
	global_load_b128 v[40:43], v[40:41], off offset:2048
	v_lshlrev_b32_e32 v130, 16, v65
	v_and_b32_e32 v100, 0xffff0000, v44
	s_waitcnt vmcnt(1)
	v_lshlrev_b32_e32 v236, 16, v36
	v_and_b32_e32 v237, 0xffff0000, v36
	v_add_co_u32 v36, vcc_lo, 0x27000, v33
	v_lshlrev_b32_e32 v238, 16, v37
	v_and_b32_e32 v239, 0xffff0000, v37
	v_add_co_ci_u32_e32 v37, vcc_lo, 0, v35, vcc_lo
	v_lshlrev_b32_e32 v240, 16, v38
	v_and_b32_e32 v241, 0xffff0000, v38
	v_add_co_u32 v38, vcc_lo, 0x28000, v33
	v_lshlrev_b32_e32 v242, 16, v39
	v_and_b32_e32 v243, 0xffff0000, v39
	v_add_co_ci_u32_e32 v39, vcc_lo, 0, v35, vcc_lo
	s_waitcnt vmcnt(0)
	v_lshlrev_b32_e32 v244, 16, v40
	v_and_b32_e32 v245, 0xffff0000, v40
	s_clause 0x1
	global_load_b128 v[33:36], v[36:37], off
	global_load_b128 v[37:40], v[38:39], off offset:2048
	v_and_b32_e32 v44, 0xffff0000, v42
	v_lshlrev_b32_e32 v248, 16, v43
	v_and_b32_e32 v47, 0xffff0000, v43
	s_waitcnt vmcnt(1)
	v_lshlrev_b32_e32 v255, 16, v36
	v_and_b32_e32 v46, 0xffff0000, v36
	v_lshlrev_b32_e32 v36, 2, v32
	v_lshlrev_b32_e32 v247, 16, v42
	;; [unrolled: 1-line block ×3, first 2 shown]
	v_and_b32_e32 v250, 0xffff0000, v33
	v_lshlrev_b32_e32 v251, 16, v34
	v_and_b32_e32 v252, 0xffff0000, v34
	v_lshlrev_b32_e32 v253, 16, v35
	v_and_b32_e32 v254, 0xffff0000, v35
	s_waitcnt vmcnt(0)
	v_lshlrev_b32_e32 v0, 16, v37
	v_and_b32_e32 v31, 0xffff0000, v37
	v_lshlrev_b32_e32 v29, 16, v38
	v_and_b32_e32 v30, 0xffff0000, v38
	;; [unrolled: 2-line block ×3, first 2 shown]
	s_clause 0x1
	global_load_b128 v[32:35], v36, s[0:1]
	global_load_b128 v[36:39], v36, s[0:1] offset:16
	scratch_load_b32 v107, off, off         ; 4-byte Folded Reload
	v_lshlrev_b32_e32 v134, 16, v81
	v_lshlrev_b32_e32 v132, 16, v73
	;; [unrolled: 1-line block ×4, first 2 shown]
	v_and_b32_e32 v41, 0xffff0000, v41
	v_lshlrev_b32_e32 v135, 16, v85
	s_waitcnt vmcnt(2)
	v_dual_fmac_f32 v10, v32, v188 :: v_dual_lshlrev_b32 v131, 16, v69
	v_fmac_f32_e32 v1, v32, v0
	s_waitcnt vmcnt(0)
	v_fmac_f32_e32 v28, v32, v107
	s_clause 0x1
	scratch_load_b32 v107, off, off offset:4
	scratch_load_b32 v0, off, off offset:16
	v_lshlrev_b32_e32 v111, 16, v52
	v_fmac_f32_e32 v5, v32, v228
	v_fmac_f32_e32 v3, v32, v244
	v_fmac_f32_e32 v27, v32, v108
	v_fmac_f32_e32 v11, v32, v180
	v_fmac_f32_e32 v7, v32, v212
	v_fmac_f32_e32 v5, v33, v229
	v_fmac_f32_e32 v19, v32, v116
	v_dual_fmac_f32 v3, v33, v245 :: v_dual_and_b32 v72, 0xffff0000, v72
	v_fmac_f32_e32 v2, v32, v249
	v_and_b32_e32 v73, 0xffff0000, v73
	v_fmac_f32_e32 v7, v33, v213
	s_delay_alu instid0(VALU_DEP_4) | instskip(SKIP_2) | instid1(VALU_DEP_4)
	v_fmac_f32_e32 v3, v34, v246
	v_fmac_f32_e32 v19, v33, v72
	v_fmac_f32_e32 v2, v33, v250
	v_dual_fmac_f32 v7, v34, v214 :: v_dual_and_b32 v64, 0xffff0000, v64
	s_delay_alu instid0(VALU_DEP_4) | instskip(SKIP_4) | instid1(VALU_DEP_4)
	v_dual_fmac_f32 v3, v35, v41 :: v_dual_lshlrev_b32 v158, 16, v74
	v_fmac_f32_e32 v21, v32, v114
	v_fmac_f32_e32 v6, v32, v220
	;; [unrolled: 1-line block ×3, first 2 shown]
	v_dual_fmac_f32 v26, v32, v109 :: v_dual_lshlrev_b32 v115, 16, v68
	v_fmac_f32_e32 v21, v33, v64
	v_lshlrev_b32_e32 v121, 16, v92
	s_delay_alu instid0(VALU_DEP_3) | instskip(SKIP_2) | instid1(VALU_DEP_4)
	v_dual_fmac_f32 v9, v33, v197 :: v_dual_fmac_f32 v20, v32, v115
	v_fmac_f32_e32 v23, v32, v112
	v_fmac_f32_e32 v17, v32, v118
	v_dual_fmac_f32 v14, v32, v121 :: v_dual_fmac_f32 v1, v33, v31
	v_fmac_f32_e32 v15, v32, v120
	v_fmac_f32_e32 v21, v34, v130
	v_dual_fmac_f32 v26, v33, v100 :: v_dual_and_b32 v101, 0xffff0000, v45
	v_dual_fmac_f32 v7, v35, v215 :: v_dual_lshlrev_b32 v156, 16, v70
	v_dual_fmac_f32 v1, v34, v29 :: v_dual_lshlrev_b32 v162, 16, v82
	v_fmac_f32_e32 v19, v34, v132
	v_and_b32_e32 v96, 0xffff0000, v96
	s_delay_alu instid0(VALU_DEP_4) | instskip(SKIP_1) | instid1(VALU_DEP_4)
	v_dual_fmac_f32 v7, v36, v216 :: v_dual_fmac_f32 v6, v33, v221
	v_lshlrev_b32_e32 v155, 16, v67
	v_fmac_f32_e32 v19, v35, v73
	v_fmac_f32_e32 v1, v35, v30
	v_dual_fmac_f32 v12, v32, v172 :: v_dual_lshlrev_b32 v129, 16, v61
	v_fmac_f32_e32 v6, v34, v222
	s_delay_alu instid0(VALU_DEP_4) | instskip(NEXT) | instid1(VALU_DEP_4)
	v_fmac_f32_e32 v19, v36, v158
	v_dual_fmac_f32 v1, v36, v42 :: v_dual_fmac_f32 v2, v34, v251
	s_delay_alu instid0(VALU_DEP_4) | instskip(NEXT) | instid1(VALU_DEP_4)
	v_fmac_f32_e32 v12, v33, v173
	v_fmac_f32_e32 v6, v35, v223
	v_dual_fmac_f32 v11, v33, v181 :: v_dual_lshlrev_b32 v110, 16, v48
	v_and_b32_e32 v56, 0xffff0000, v56
	v_dual_fmac_f32 v2, v35, v252 :: v_dual_fmac_f32 v1, v37, v43
	s_delay_alu instid0(VALU_DEP_3) | instskip(NEXT) | instid1(VALU_DEP_4)
	v_fmac_f32_e32 v25, v32, v110
	v_dual_fmac_f32 v11, v34, v182 :: v_dual_lshlrev_b32 v138, 16, v97
	s_delay_alu instid0(VALU_DEP_4) | instskip(SKIP_4) | instid1(VALU_DEP_3)
	v_fmac_f32_e32 v23, v33, v56
	v_and_b32_e32 v97, 0xffff0000, v97
	v_fmac_f32_e32 v2, v36, v253
	v_fmac_f32_e32 v10, v33, v189
	;; [unrolled: 1-line block ×3, first 2 shown]
	v_dual_fmac_f32 v23, v34, v128 :: v_dual_fmac_f32 v2, v37, v254
	s_delay_alu instid0(VALU_DEP_2) | instskip(NEXT) | instid1(VALU_DEP_2)
	v_fmac_f32_e32 v26, v35, v101
	v_fmac_f32_e32 v2, v38, v255
	v_dual_fmac_f32 v3, v36, v247 :: v_dual_lshlrev_b32 v164, 16, v86
	v_lshlrev_b32_e32 v170, 16, v98
	s_delay_alu instid0(VALU_DEP_2) | instskip(NEXT) | instid1(VALU_DEP_1)
	v_dual_fmac_f32 v3, v37, v44 :: v_dual_and_b32 v98, 0xffff0000, v98
	v_fmac_f32_e32 v3, v38, v248
	v_fmac_f32_e32 v6, v36, v224
	s_waitcnt vmcnt(1)
	v_fmac_f32_e32 v28, v33, v107
	scratch_load_b32 v107, off, off offset:8 ; 4-byte Folded Reload
	v_lshlrev_b32_e32 v113, 16, v60
	v_dual_fmac_f32 v24, v32, v111 :: v_dual_lshlrev_b32 v117, 16, v76
	v_and_b32_e32 v76, 0xffff0000, v76
	s_delay_alu instid0(VALU_DEP_2) | instskip(SKIP_2) | instid1(VALU_DEP_3)
	v_dual_fmac_f32 v18, v32, v117 :: v_dual_fmac_f32 v27, v33, v123
	v_lshlrev_b32_e32 v148, 16, v54
	v_and_b32_e32 v54, 0xffff0000, v54
	v_dual_fmac_f32 v18, v33, v76 :: v_dual_and_b32 v61, 0xffff0000, v61
	s_delay_alu instid0(VALU_DEP_4) | instskip(SKIP_3) | instid1(VALU_DEP_2)
	v_fmac_f32_e32 v27, v34, v124
	s_waitcnt vmcnt(0)
	v_dual_fmac_f32 v28, v34, v107 :: v_dual_lshlrev_b32 v119, 16, v84
	v_fmac_f32_e32 v22, v32, v113
	v_dual_fmac_f32 v28, v35, v0 :: v_dual_lshlrev_b32 v127, 16, v53
	s_delay_alu instid0(VALU_DEP_3)
	v_fmac_f32_e32 v16, v32, v119
	scratch_load_b32 v0, off, off offset:12 ; 4-byte Folded Reload
	v_dual_fmac_f32 v27, v35, v139 :: v_dual_and_b32 v80, 0xffff0000, v80
	v_and_b32_e32 v74, 0xffff0000, v74
	v_dual_fmac_f32 v28, v36, v104 :: v_dual_lshlrev_b32 v157, 16, v71
	v_lshlrev_b32_e32 v165, 16, v87
	s_delay_alu instid0(VALU_DEP_4) | instskip(NEXT) | instid1(VALU_DEP_4)
	v_fmac_f32_e32 v27, v36, v140
	v_fmac_f32_e32 v19, v37, v74
	v_dual_fmac_f32 v8, v32, v204 :: v_dual_lshlrev_b32 v133, 16, v77
	v_lshlrev_b32_e32 v147, 16, v51
	v_and_b32_e32 v51, 0xffff0000, v51
	v_and_b32_e32 v87, 0xffff0000, v87
	v_dual_fmac_f32 v27, v37, v141 :: v_dual_and_b32 v86, 0xffff0000, v86
	v_fmac_f32_e32 v17, v33, v80
	v_and_b32_e32 v48, 0xffff0000, v48
	v_fmac_f32_e32 v18, v34, v133
	s_delay_alu instid0(VALU_DEP_4) | instskip(NEXT) | instid1(VALU_DEP_4)
	v_dual_fmac_f32 v28, v37, v105 :: v_dual_fmac_f32 v27, v38, v142
	v_dual_fmac_f32 v17, v34, v134 :: v_dual_lshlrev_b32 v136, 16, v89
	s_delay_alu instid0(VALU_DEP_4) | instskip(SKIP_1) | instid1(VALU_DEP_4)
	v_fmac_f32_e32 v25, v33, v48
	v_and_b32_e32 v71, 0xffff0000, v71
	v_dual_fmac_f32 v27, v39, v143 :: v_dual_and_b32 v68, 0xffff0000, v68
	v_fmac_f32_e32 v5, v34, v230
	v_and_b32_e32 v57, 0xffff0000, v57
	v_fmac_f32_e32 v25, v34, v126
	s_delay_alu instid0(VALU_DEP_4) | instskip(NEXT) | instid1(VALU_DEP_3)
	v_dual_fmac_f32 v13, v32, v122 :: v_dual_fmac_f32 v20, v33, v68
	v_dual_fmac_f32 v23, v35, v57 :: v_dual_and_b32 v88, 0xffff0000, v88
	s_delay_alu instid0(VALU_DEP_2) | instskip(NEXT) | instid1(VALU_DEP_2)
	v_dual_fmac_f32 v13, v33, v96 :: v_dual_lshlrev_b32 v146, 16, v50
	v_dual_fmac_f32 v15, v33, v88 :: v_dual_and_b32 v50, 0xffff0000, v50
	v_lshlrev_b32_e32 v150, 16, v58
	v_dual_fmac_f32 v20, v34, v131 :: v_dual_and_b32 v81, 0xffff0000, v81
	s_delay_alu instid0(VALU_DEP_3) | instskip(NEXT) | instid1(VALU_DEP_3)
	v_dual_fmac_f32 v15, v34, v136 :: v_dual_and_b32 v58, 0xffff0000, v58
	v_fmac_f32_e32 v23, v36, v150
	s_delay_alu instid0(VALU_DEP_3) | instskip(SKIP_2) | instid1(VALU_DEP_4)
	v_dual_fmac_f32 v17, v35, v81 :: v_dual_and_b32 v52, 0xffff0000, v52
	v_fmac_f32_e32 v13, v34, v138
	v_and_b32_e32 v49, 0xffff0000, v49
	v_dual_fmac_f32 v23, v37, v58 :: v_dual_and_b32 v60, 0xffff0000, v60
	v_fmac_f32_e32 v9, v34, v198
	v_dual_fmac_f32 v24, v33, v52 :: v_dual_and_b32 v53, 0xffff0000, v53
	s_delay_alu instid0(VALU_DEP_4) | instskip(NEXT) | instid1(VALU_DEP_4)
	v_dual_fmac_f32 v25, v35, v49 :: v_dual_and_b32 v84, 0xffff0000, v84
	v_dual_fmac_f32 v22, v33, v60 :: v_dual_lshlrev_b32 v151, 16, v59
	s_delay_alu instid0(VALU_DEP_3) | instskip(NEXT) | instid1(VALU_DEP_2)
	v_dual_fmac_f32 v24, v34, v127 :: v_dual_and_b32 v77, 0xffff0000, v77
	v_dual_fmac_f32 v22, v34, v129 :: v_dual_lshlrev_b32 v159, 16, v75
	v_and_b32_e32 v75, 0xffff0000, v75
	v_fmac_f32_e32 v25, v36, v146
	v_dual_fmac_f32 v12, v34, v174 :: v_dual_and_b32 v89, 0xffff0000, v89
	v_lshlrev_b32_e32 v152, 16, v62
	v_fmac_f32_e32 v22, v35, v61
	v_dual_fmac_f32 v16, v33, v84 :: v_dual_and_b32 v65, 0xffff0000, v65
	v_dual_fmac_f32 v13, v35, v97 :: v_dual_and_b32 v62, 0xffff0000, v62
	v_dual_fmac_f32 v24, v35, v53 :: v_dual_lshlrev_b32 v169, 16, v95
	v_fmac_f32_e32 v15, v35, v89
	v_dual_fmac_f32 v22, v36, v152 :: v_dual_and_b32 v95, 0xffff0000, v95
	v_fmac_f32_e32 v25, v37, v50
	v_dual_fmac_f32 v16, v34, v135 :: v_dual_and_b32 v85, 0xffff0000, v85
	s_delay_alu instid0(VALU_DEP_3) | instskip(NEXT) | instid1(VALU_DEP_3)
	v_dual_fmac_f32 v22, v37, v62 :: v_dual_lshlrev_b32 v163, 16, v83
	v_dual_fmac_f32 v8, v33, v205 :: v_dual_fmac_f32 v25, v38, v147
	s_delay_alu instid0(VALU_DEP_3) | instskip(SKIP_2) | instid1(VALU_DEP_4)
	v_dual_fmac_f32 v16, v35, v85 :: v_dual_and_b32 v59, 0xffff0000, v59
	v_dual_fmac_f32 v23, v38, v151 :: v_dual_and_b32 v92, 0xffff0000, v92
	v_fmac_f32_e32 v21, v35, v65
	v_fmac_f32_e32 v25, v39, v51
	v_dual_fmac_f32 v4, v32, v236 :: v_dual_lshlrev_b32 v137, 16, v93
	v_dual_fmac_f32 v16, v36, v164 :: v_dual_lshlrev_b32 v149, 16, v55
	v_fmac_f32_e32 v23, v39, v59
	v_dual_fmac_f32 v14, v33, v92 :: v_dual_and_b32 v69, 0xffff0000, v69
	s_delay_alu instid0(VALU_DEP_4) | instskip(NEXT) | instid1(VALU_DEP_4)
	v_dual_fmac_f32 v4, v33, v237 :: v_dual_and_b32 v67, 0xffff0000, v67
	v_fmac_f32_e32 v16, v37, v86
	v_dual_fmac_f32 v5, v35, v231 :: v_dual_and_b32 v70, 0xffff0000, v70
	s_delay_alu instid0(VALU_DEP_3) | instskip(SKIP_1) | instid1(VALU_DEP_4)
	v_dual_fmac_f32 v4, v34, v238 :: v_dual_lshlrev_b32 v161, 16, v79
	v_fmac_f32_e32 v20, v35, v69
	v_dual_fmac_f32 v16, v38, v165 :: v_dual_lshlrev_b32 v45, 16, v40
	s_delay_alu instid0(VALU_DEP_3) | instskip(SKIP_4) | instid1(VALU_DEP_4)
	v_fmac_f32_e32 v4, v35, v239
	v_dual_fmac_f32 v11, v35, v183 :: v_dual_lshlrev_b32 v154, 16, v66
	v_fmac_f32_e32 v17, v36, v162
	v_fmac_f32_e32 v13, v36, v170
	v_dual_fmac_f32 v10, v34, v190 :: v_dual_and_b32 v93, 0xffff0000, v93
	v_fmac_f32_e32 v21, v36, v154
	v_fmac_f32_e32 v4, v36, v240
	v_dual_fmac_f32 v9, v35, v199 :: v_dual_and_b32 v66, 0xffff0000, v66
	v_dual_fmac_f32 v16, v39, v87 :: v_dual_fmac_f32 v1, v38, v45
	v_dual_fmac_f32 v5, v36, v232 :: v_dual_and_b32 v82, 0xffff0000, v82
	v_dual_fmac_f32 v14, v34, v137 :: v_dual_lshlrev_b32 v153, 16, v63
	v_dual_fmac_f32 v20, v36, v156 :: v_dual_lshlrev_b32 v171, 16, v99
	v_dual_fmac_f32 v10, v35, v191 :: v_dual_fmac_f32 v21, v37, v66
	s_delay_alu instid0(VALU_DEP_4) | instskip(SKIP_1) | instid1(VALU_DEP_3)
	v_fmac_f32_e32 v17, v37, v82
	v_dual_fmac_f32 v8, v34, v206 :: v_dual_and_b32 v63, 0xffff0000, v63
	v_dual_fmac_f32 v20, v37, v70 :: v_dual_fmac_f32 v21, v38, v155
	s_delay_alu instid0(VALU_DEP_4) | instskip(NEXT) | instid1(VALU_DEP_3)
	v_dual_fmac_f32 v10, v36, v192 :: v_dual_and_b32 v55, 0xffff0000, v55
	v_fmac_f32_e32 v8, v35, v207
	v_dual_fmac_f32 v14, v35, v93 :: v_dual_and_b32 v83, 0xffff0000, v83
	v_dual_fmac_f32 v17, v38, v163 :: v_dual_lshlrev_b32 v160, 16, v78
	v_fmac_f32_e32 v11, v36, v184
	s_delay_alu instid0(VALU_DEP_4)
	v_fmac_f32_e32 v8, v36, v208
	v_fmac_f32_e32 v10, v37, v193
	v_dual_fmac_f32 v7, v37, v217 :: v_dual_lshlrev_b32 v168, 16, v94
	v_dual_fmac_f32 v18, v35, v77 :: v_dual_and_b32 v79, 0xffff0000, v79
	v_dual_fmac_f32 v28, v38, v106 :: v_dual_lshlrev_b32 v167, 16, v91
	v_fmac_f32_e32 v12, v35, v175
	s_delay_alu instid0(VALU_DEP_4) | instskip(SKIP_4) | instid1(VALU_DEP_4)
	v_fmac_f32_e32 v14, v36, v168
	v_dual_fmac_f32 v11, v37, v185 :: v_dual_lshlrev_b32 v166, 16, v90
	v_dual_fmac_f32 v26, v36, v144 :: v_dual_and_b32 v91, 0xffff0000, v91
	v_dual_fmac_f32 v18, v36, v160 :: v_dual_and_b32 v99, 0xffff0000, v99
	v_fmac_f32_e32 v24, v36, v148
	v_fmac_f32_e32 v15, v36, v166
	;; [unrolled: 1-line block ×5, first 2 shown]
	v_dual_fmac_f32 v5, v37, v233 :: v_dual_and_b32 v94, 0xffff0000, v94
	v_dual_fmac_f32 v19, v38, v159 :: v_dual_and_b32 v78, 0xffff0000, v78
	v_dual_fmac_f32 v9, v36, v200 :: v_dual_fmac_f32 v26, v37, v102
	v_fmac_f32_e32 v24, v37, v54
	s_delay_alu instid0(VALU_DEP_4) | instskip(NEXT) | instid1(VALU_DEP_4)
	v_fmac_f32_e32 v14, v37, v94
	v_fmac_f32_e32 v18, v37, v78
	;; [unrolled: 1-line block ×7, first 2 shown]
	v_dual_fmac_f32 v3, v39, v47 :: v_dual_and_b32 v40, 0xffff0000, v40
	v_fmac_f32_e32 v26, v38, v145
	v_fmac_f32_e32 v24, v38, v149
	;; [unrolled: 1-line block ×10, first 2 shown]
	v_dual_fmac_f32 v6, v38, v226 :: v_dual_fmac_f32 v1, v39, v40
	v_dual_fmac_f32 v5, v38, v234 :: v_dual_fmac_f32 v26, v39, v103
	v_fmac_f32_e32 v24, v39, v55
	v_fmac_f32_e32 v22, v39, v63
	;; [unrolled: 1-line block ×16, first 2 shown]
	s_waitcnt vmcnt(0)
	v_fmac_f32_e32 v28, v39, v0
	v_dual_fmac_f32 v9, v37, v201 :: v_dual_and_b32 v90, 0xffff0000, v90
	s_delay_alu instid0(VALU_DEP_1) | instskip(NEXT) | instid1(VALU_DEP_2)
	v_fmac_f32_e32 v15, v37, v90
	v_fmac_f32_e32 v9, v38, v202
	;; [unrolled: 1-line block ×3, first 2 shown]
	s_delay_alu instid0(VALU_DEP_3) | instskip(NEXT) | instid1(VALU_DEP_3)
	v_fmac_f32_e32 v15, v38, v167
	v_fmac_f32_e32 v9, v39, v203
	s_delay_alu instid0(VALU_DEP_3) | instskip(SKIP_1) | instid1(VALU_DEP_4)
	v_fmac_f32_e32 v8, v39, v211
	v_fmac_f32_e32 v2, v39, v46
	;; [unrolled: 1-line block ×3, first 2 shown]
	s_cbranch_scc0 .LBB59_1
; %bb.2:
	scratch_load_b32 v37, off, off offset:32 ; 4-byte Folded Reload
	v_mbcnt_lo_u32_b32 v32, -1, 0
	s_delay_alu instid0(VALU_DEP_1) | instskip(SKIP_1) | instid1(VALU_DEP_2)
	v_xor_b32_e32 v29, 16, v32
	v_xor_b32_e32 v30, 8, v32
	v_cmp_gt_i32_e32 vcc_lo, 32, v29
	v_cndmask_b32_e32 v29, v32, v29, vcc_lo
	s_delay_alu instid0(VALU_DEP_3) | instskip(SKIP_1) | instid1(VALU_DEP_1)
	v_cmp_gt_i32_e32 vcc_lo, 32, v30
	v_cndmask_b32_e32 v30, v32, v30, vcc_lo
	v_lshlrev_b32_e32 v30, 2, v30
	s_delay_alu instid0(VALU_DEP_4) | instskip(SKIP_4) | instid1(VALU_DEP_1)
	v_lshlrev_b32_e32 v29, 2, v29
	ds_bpermute_b32 v31, v29, v28
	s_waitcnt lgkmcnt(0)
	v_add_f32_e32 v31, v28, v31
	v_xor_b32_e32 v28, 4, v32
	v_cmp_gt_i32_e32 vcc_lo, 32, v28
	v_cndmask_b32_e32 v28, v32, v28, vcc_lo
	s_delay_alu instid0(VALU_DEP_1)
	v_lshlrev_b32_e32 v28, 2, v28
	ds_bpermute_b32 v33, v30, v31
	s_waitcnt lgkmcnt(0)
	v_add_f32_e32 v33, v31, v33
	v_xor_b32_e32 v31, 2, v32
	ds_bpermute_b32 v34, v28, v33
	v_cmp_gt_i32_e32 vcc_lo, 32, v31
	s_waitcnt lgkmcnt(0)
	v_dual_cndmask_b32 v31, v32, v31 :: v_dual_add_f32 v34, v33, v34
	v_xor_b32_e32 v33, 1, v32
	s_delay_alu instid0(VALU_DEP_1) | instskip(NEXT) | instid1(VALU_DEP_3)
	v_cmp_gt_i32_e32 vcc_lo, 32, v33
	v_dual_cndmask_b32 v32, v32, v33 :: v_dual_lshlrev_b32 v31, 2, v31
	ds_bpermute_b32 v35, v31, v34
	s_waitcnt lgkmcnt(0)
	v_dual_add_f32 v34, v34, v35 :: v_dual_lshlrev_b32 v33, 2, v32
	ds_bpermute_b32 v35, v33, v34
	s_waitcnt vmcnt(0)
	v_and_b32_e32 v32, 31, v37
	v_lshrrev_b32_e32 v36, 5, v37
	s_delay_alu instid0(VALU_DEP_2) | instskip(NEXT) | instid1(VALU_DEP_2)
	v_cmp_eq_u32_e32 vcc_lo, 0, v32
	v_lshlrev_b32_e32 v32, 2, v36
	s_and_saveexec_b32 s0, vcc_lo
	s_cbranch_execz .LBB59_4
; %bb.3:
	s_waitcnt lgkmcnt(0)
	v_add_f32_e32 v0, v34, v35
	ds_store_b32 v32, v0
.LBB59_4:
	s_or_b32 exec_lo, exec_lo, s0
	ds_bpermute_b32 v0, v29, v27
	s_waitcnt lgkmcnt(0)
	v_add_f32_e32 v0, v27, v0
	ds_bpermute_b32 v27, v30, v0
	s_waitcnt lgkmcnt(0)
	v_add_f32_e32 v0, v0, v27
	ds_bpermute_b32 v27, v28, v0
	s_waitcnt lgkmcnt(0)
	v_add_f32_e32 v0, v0, v27
	ds_bpermute_b32 v27, v31, v0
	s_waitcnt lgkmcnt(0)
	v_add_f32_e32 v27, v0, v27
	ds_bpermute_b32 v34, v33, v27
	s_and_saveexec_b32 s0, vcc_lo
	s_cbranch_execz .LBB59_6
; %bb.5:
	s_waitcnt lgkmcnt(0)
	v_add_f32_e32 v0, v27, v34
	ds_store_b32 v32, v0 offset:16
.LBB59_6:
	s_or_b32 exec_lo, exec_lo, s0
	ds_bpermute_b32 v0, v29, v26
	s_waitcnt lgkmcnt(0)
	v_add_f32_e32 v0, v26, v0
	ds_bpermute_b32 v26, v30, v0
	s_waitcnt lgkmcnt(0)
	v_add_f32_e32 v0, v0, v26
	ds_bpermute_b32 v26, v28, v0
	s_waitcnt lgkmcnt(0)
	v_add_f32_e32 v0, v0, v26
	ds_bpermute_b32 v26, v31, v0
	s_waitcnt lgkmcnt(0)
	v_add_f32_e32 v26, v0, v26
	ds_bpermute_b32 v27, v33, v26
	s_and_saveexec_b32 s0, vcc_lo
	s_cbranch_execz .LBB59_8
; %bb.7:
	s_waitcnt lgkmcnt(0)
	v_add_f32_e32 v0, v26, v27
	ds_store_b32 v32, v0 offset:32
.LBB59_8:
	;; [unrolled: 21-line block ×27, first 2 shown]
	s_or_b32 exec_lo, exec_lo, s0
	s_waitcnt lgkmcnt(0)
	s_waitcnt_vscnt null, 0x0
	s_barrier
	buffer_gl0_inv
	s_mov_b32 s0, exec_lo
	v_cmpx_eq_u32_e32 0, v37
	s_cbranch_execz .LBB59_60
; %bb.59:
	v_mov_b32_e32 v44, 0
	s_ashr_i32 s3, s2, 31
	ds_load_b128 v[0:3], v44
	ds_load_b128 v[4:7], v44 offset:16
	ds_load_b128 v[8:11], v44 offset:32
	;; [unrolled: 1-line block ×7, first 2 shown]
	s_lshl_b64 s[0:1], s[2:3], 2
	s_delay_alu instid0(SALU_CYCLE_1)
	s_add_u32 s0, s4, s0
	s_addc_u32 s1, s5, s1
	s_waitcnt lgkmcnt(4)
	v_add_f32_e32 v12, 0, v12
	v_add_f32_e32 v0, 0, v0
	s_waitcnt lgkmcnt(2)
	v_add_f32_e32 v20, 0, v20
	v_add_f32_e32 v4, 0, v4
	;; [unrolled: 3-line block ×3, first 2 shown]
	s_delay_alu instid0(VALU_DEP_3)
	v_dual_add_f32 v1, v4, v5 :: v_dual_add_f32 v8, 0, v8
	ds_load_b128 v[32:35], v44 offset:128
	ds_load_b128 v[36:39], v44 offset:144
	v_add_f32_e32 v5, v12, v13
	ds_load_b128 v[40:43], v44 offset:160
	v_dual_add_f32 v1, v1, v6 :: v_dual_add_f32 v4, v8, v9
	v_add_f32_e32 v0, v0, v2
	v_add_f32_e32 v16, 0, v16
	;; [unrolled: 1-line block ×3, first 2 shown]
	s_delay_alu instid0(VALU_DEP_4) | instskip(SKIP_1) | instid1(VALU_DEP_2)
	v_add_f32_e32 v2, v4, v10
	v_add_f32_e32 v4, v5, v14
	;; [unrolled: 1-line block ×3, first 2 shown]
	s_delay_alu instid0(VALU_DEP_2) | instskip(SKIP_4) | instid1(VALU_DEP_3)
	v_add_f32_e32 v25, v4, v15
	s_waitcnt lgkmcnt(3)
	v_dual_add_f32 v9, v20, v21 :: v_dual_add_f32 v28, 0, v28
	v_add_f32_e32 v20, v0, v3
	v_dual_add_f32 v21, v1, v7 :: v_dual_add_f32 v8, v16, v17
	v_dual_add_f32 v1, v9, v22 :: v_dual_add_f32 v0, v28, v29
	v_add_f32_e32 v3, v12, v26
	s_waitcnt lgkmcnt(1)
	v_add_f32_e32 v29, 0, v36
	v_add_f32_e32 v5, v8, v18
	v_dual_add_f32 v23, v1, v23 :: v_dual_add_f32 v4, v0, v30
	v_add_f32_e32 v2, 0, v32
	v_add_f32_e32 v26, v3, v27
	s_delay_alu instid0(VALU_DEP_4) | instskip(NEXT) | instid1(VALU_DEP_3)
	v_add_f32_e32 v45, v5, v19
	v_dual_add_f32 v27, v4, v31 :: v_dual_add_f32 v8, v2, v33
	ds_load_b128 v[0:3], v44 offset:176
	ds_load_b128 v[4:7], v44 offset:192
	v_add_f32_e32 v28, v8, v34
	ds_load_b128 v[8:11], v44 offset:208
	ds_load_b128 v[12:15], v44 offset:224
	;; [unrolled: 1-line block ×3, first 2 shown]
	s_waitcnt lgkmcnt(4)
	v_add_f32_e32 v0, 0, v0
	s_waitcnt lgkmcnt(3)
	v_add_f32_e32 v4, 0, v4
	v_mov_b32_e32 v22, 0x1000
	s_delay_alu instid0(VALU_DEP_3) | instskip(SKIP_1) | instid1(VALU_DEP_3)
	v_add_f32_e32 v0, v0, v1
	s_waitcnt lgkmcnt(1)
	v_dual_add_f32 v1, v4, v5 :: v_dual_add_f32 v4, 0, v12
	s_waitcnt lgkmcnt(0)
	s_delay_alu instid0(VALU_DEP_2) | instskip(NEXT) | instid1(VALU_DEP_2)
	v_dual_add_f32 v5, 0, v16 :: v_dual_add_f32 v0, v0, v2
	v_dual_add_f32 v1, v1, v6 :: v_dual_add_f32 v2, 0, v8
	s_delay_alu instid0(VALU_DEP_2) | instskip(NEXT) | instid1(VALU_DEP_2)
	v_add_f32_e32 v32, v0, v3
	v_dual_add_f32 v33, v1, v7 :: v_dual_add_f32 v0, v2, v9
	v_add_f32_e32 v1, v4, v13
	v_add_f32_e32 v2, v5, v17
	s_delay_alu instid0(VALU_DEP_3) | instskip(NEXT) | instid1(VALU_DEP_3)
	v_add_f32_e32 v8, v0, v10
	v_dual_add_f32 v30, 0, v40 :: v_dual_add_f32 v9, v1, v14
	s_clause 0x7
	global_store_b32 v44, v20, s[0:1]
	global_store_b32 v44, v21, s[0:1] offset:1024
	global_store_b32 v44, v24, s[0:1] offset:2048
	global_store_b32 v44, v25, s[0:1] offset:3072
	global_store_b32 v22, v45, s[0:1]
	global_store_b32 v22, v23, s[0:1] offset:1024
	global_store_b32 v22, v26, s[0:1] offset:2048
	;; [unrolled: 1-line block ×3, first 2 shown]
	v_add_f32_e32 v24, v29, v37
	ds_load_b128 v[20:23], v44 offset:256
	v_add_f32_e32 v25, v30, v41
	v_dual_add_f32 v10, v2, v18 :: v_dual_mov_b32 v29, 0x2000
	v_dual_add_f32 v24, v24, v38 :: v_dual_mov_b32 v41, 0x4000
	s_delay_alu instid0(VALU_DEP_3) | instskip(NEXT) | instid1(VALU_DEP_3)
	v_add_f32_e32 v30, v25, v42
	v_add_f32_e32 v34, v10, v19
	s_delay_alu instid0(VALU_DEP_3) | instskip(SKIP_3) | instid1(VALU_DEP_1)
	v_add_f32_e32 v31, v24, v39
	ds_load_b128 v[24:27], v44 offset:272
	s_waitcnt lgkmcnt(1)
	v_dual_add_f32 v3, 0, v20 :: v_dual_mov_b32 v20, 0x3000
	v_add_f32_e32 v12, v3, v21
	ds_load_b128 v[0:3], v44 offset:288
	ds_load_b128 v[4:7], v44 offset:304
	v_add_f32_e32 v21, v8, v11
	s_waitcnt lgkmcnt(2)
	v_dual_add_f32 v13, 0, v24 :: v_dual_add_f32 v24, v9, v15
	s_delay_alu instid0(VALU_DEP_1)
	v_dual_add_f32 v22, v12, v22 :: v_dual_add_f32 v25, v13, v25
	ds_load_b128 v[8:11], v44 offset:320
	ds_load_b128 v[12:15], v44 offset:336
	;; [unrolled: 1-line block ×3, first 2 shown]
	v_add_f32_e32 v28, v28, v35
	v_add_f32_e32 v40, v22, v23
	s_waitcnt lgkmcnt(4)
	v_add_f32_e32 v0, 0, v0
	s_waitcnt lgkmcnt(3)
	v_add_f32_e32 v4, 0, v4
	s_delay_alu instid0(VALU_DEP_2) | instskip(SKIP_1) | instid1(VALU_DEP_2)
	v_add_f32_e32 v0, v0, v1
	s_waitcnt lgkmcnt(2)
	v_dual_add_f32 v1, v4, v5 :: v_dual_add_f32 v4, 0, v8
	s_waitcnt lgkmcnt(1)
	v_add_f32_e32 v5, 0, v12
	s_waitcnt lgkmcnt(0)
	v_add_f32_e32 v8, 0, v16
	v_add_f32_e32 v0, v0, v2
	v_dual_add_f32 v1, v1, v6 :: v_dual_add_f32 v4, v4, v9
	v_add_f32_e32 v2, v5, v13
	s_delay_alu instid0(VALU_DEP_4) | instskip(NEXT) | instid1(VALU_DEP_4)
	v_dual_add_f32 v5, v8, v17 :: v_dual_add_f32 v30, v30, v43
	v_add_f32_e32 v0, v0, v3
	s_delay_alu instid0(VALU_DEP_4) | instskip(NEXT) | instid1(VALU_DEP_3)
	v_dual_add_f32 v4, v4, v10 :: v_dual_add_f32 v1, v1, v7
	v_add_f32_e32 v3, v5, v18
	v_add_f32_e32 v2, v2, v14
	v_mov_b32_e32 v6, 0x5000
	s_delay_alu instid0(VALU_DEP_4)
	v_dual_add_f32 v4, v4, v11 :: v_dual_mov_b32 v11, 0x6000
	s_clause 0x7
	global_store_b32 v29, v28, s[0:1]
	global_store_b32 v29, v31, s[0:1] offset:1024
	global_store_b32 v29, v30, s[0:1] offset:2048
	global_store_b32 v29, v32, s[0:1] offset:3072
	global_store_b32 v20, v33, s[0:1]
	global_store_b32 v20, v21, s[0:1] offset:1024
	global_store_b32 v20, v24, s[0:1] offset:2048
	;; [unrolled: 1-line block ×3, first 2 shown]
	v_add_f32_e32 v20, v25, v26
	v_add_f32_e32 v2, v2, v15
	v_add_f32_e32 v3, v3, v19
	s_delay_alu instid0(VALU_DEP_3)
	v_add_f32_e32 v42, v20, v27
	ds_load_b128 v[20:23], v44 offset:368
	ds_load_b128 v[24:27], v44 offset:384
	;; [unrolled: 1-line block ×5, first 2 shown]
	s_waitcnt lgkmcnt(4)
	v_add_f32_e32 v5, 0, v20
	s_waitcnt lgkmcnt(3)
	v_add_f32_e32 v7, 0, v24
	;; [unrolled: 2-line block ×4, first 2 shown]
	s_waitcnt lgkmcnt(0)
	v_dual_add_f32 v10, 0, v36 :: v_dual_add_f32 v5, v5, v21
	v_add_f32_e32 v7, v7, v25
	v_add_f32_e32 v8, v8, v29
	;; [unrolled: 1-line block ×3, first 2 shown]
	s_delay_alu instid0(VALU_DEP_4) | instskip(NEXT) | instid1(VALU_DEP_4)
	v_dual_add_f32 v10, v10, v37 :: v_dual_add_f32 v5, v5, v22
	v_add_f32_e32 v7, v7, v26
	s_delay_alu instid0(VALU_DEP_4) | instskip(NEXT) | instid1(VALU_DEP_4)
	v_add_f32_e32 v8, v8, v30
	v_add_f32_e32 v9, v9, v34
	s_delay_alu instid0(VALU_DEP_4) | instskip(NEXT) | instid1(VALU_DEP_4)
	v_dual_add_f32 v10, v10, v38 :: v_dual_add_f32 v5, v5, v23
	v_add_f32_e32 v7, v7, v27
	s_delay_alu instid0(VALU_DEP_4) | instskip(NEXT) | instid1(VALU_DEP_4)
	v_add_f32_e32 v8, v8, v31
	v_add_f32_e32 v9, v9, v35
	s_delay_alu instid0(VALU_DEP_4)
	v_add_f32_e32 v10, v10, v39
	s_clause 0xb
	global_store_b32 v41, v40, s[0:1]
	global_store_b32 v41, v42, s[0:1] offset:1024
	global_store_b32 v41, v0, s[0:1] offset:2048
	global_store_b32 v41, v1, s[0:1] offset:3072
	global_store_b32 v6, v4, s[0:1]
	global_store_b32 v6, v2, s[0:1] offset:1024
	global_store_b32 v6, v3, s[0:1] offset:2048
	global_store_b32 v6, v5, s[0:1] offset:3072
	;; [unrolled: 4-line block ×3, first 2 shown]
.LBB59_60:
	s_nop 0
	s_sendmsg sendmsg(MSG_DEALLOC_VGPRS)
	s_endpgm
	.section	.rodata,"a",@progbits
	.p2align	6, 0x0
	.amdhsa_kernel _Z23fp32_router_gemm_kernelI14__hip_bfloat16Li128ELi28ELi256ELi3072EEvPfPKT_PKf
		.amdhsa_group_segment_fixed_size 448
		.amdhsa_private_segment_fixed_size 40
		.amdhsa_kernarg_size 24
		.amdhsa_user_sgpr_count 15
		.amdhsa_user_sgpr_dispatch_ptr 0
		.amdhsa_user_sgpr_queue_ptr 0
		.amdhsa_user_sgpr_kernarg_segment_ptr 1
		.amdhsa_user_sgpr_dispatch_id 0
		.amdhsa_user_sgpr_private_segment_size 0
		.amdhsa_wavefront_size32 1
		.amdhsa_uses_dynamic_stack 0
		.amdhsa_enable_private_segment 1
		.amdhsa_system_sgpr_workgroup_id_x 1
		.amdhsa_system_sgpr_workgroup_id_y 0
		.amdhsa_system_sgpr_workgroup_id_z 0
		.amdhsa_system_sgpr_workgroup_info 0
		.amdhsa_system_vgpr_workitem_id 0
		.amdhsa_next_free_vgpr 256
		.amdhsa_next_free_sgpr 16
		.amdhsa_reserve_vcc 1
		.amdhsa_float_round_mode_32 0
		.amdhsa_float_round_mode_16_64 0
		.amdhsa_float_denorm_mode_32 3
		.amdhsa_float_denorm_mode_16_64 3
		.amdhsa_dx10_clamp 1
		.amdhsa_ieee_mode 1
		.amdhsa_fp16_overflow 0
		.amdhsa_workgroup_processor_mode 1
		.amdhsa_memory_ordered 1
		.amdhsa_forward_progress 0
		.amdhsa_shared_vgpr_count 0
		.amdhsa_exception_fp_ieee_invalid_op 0
		.amdhsa_exception_fp_denorm_src 0
		.amdhsa_exception_fp_ieee_div_zero 0
		.amdhsa_exception_fp_ieee_overflow 0
		.amdhsa_exception_fp_ieee_underflow 0
		.amdhsa_exception_fp_ieee_inexact 0
		.amdhsa_exception_int_div_zero 0
	.end_amdhsa_kernel
	.section	.text._Z23fp32_router_gemm_kernelI14__hip_bfloat16Li128ELi28ELi256ELi3072EEvPfPKT_PKf,"axG",@progbits,_Z23fp32_router_gemm_kernelI14__hip_bfloat16Li128ELi28ELi256ELi3072EEvPfPKT_PKf,comdat
.Lfunc_end59:
	.size	_Z23fp32_router_gemm_kernelI14__hip_bfloat16Li128ELi28ELi256ELi3072EEvPfPKT_PKf, .Lfunc_end59-_Z23fp32_router_gemm_kernelI14__hip_bfloat16Li128ELi28ELi256ELi3072EEvPfPKT_PKf
                                        ; -- End function
	.section	.AMDGPU.csdata,"",@progbits
; Kernel info:
; codeLenInByte = 7736
; NumSgprs: 18
; NumVgprs: 256
; ScratchSize: 40
; MemoryBound: 0
; FloatMode: 240
; IeeeMode: 1
; LDSByteSize: 448 bytes/workgroup (compile time only)
; SGPRBlocks: 2
; VGPRBlocks: 31
; NumSGPRsForWavesPerEU: 18
; NumVGPRsForWavesPerEU: 256
; Occupancy: 5
; WaveLimiterHint : 1
; COMPUTE_PGM_RSRC2:SCRATCH_EN: 1
; COMPUTE_PGM_RSRC2:USER_SGPR: 15
; COMPUTE_PGM_RSRC2:TRAP_HANDLER: 0
; COMPUTE_PGM_RSRC2:TGID_X_EN: 1
; COMPUTE_PGM_RSRC2:TGID_Y_EN: 0
; COMPUTE_PGM_RSRC2:TGID_Z_EN: 0
; COMPUTE_PGM_RSRC2:TIDIG_COMP_CNT: 0
	.section	.text._Z23fp32_router_gemm_kernelI14__hip_bfloat16Li128ELi29ELi256ELi3072EEvPfPKT_PKf,"axG",@progbits,_Z23fp32_router_gemm_kernelI14__hip_bfloat16Li128ELi29ELi256ELi3072EEvPfPKT_PKf,comdat
	.protected	_Z23fp32_router_gemm_kernelI14__hip_bfloat16Li128ELi29ELi256ELi3072EEvPfPKT_PKf ; -- Begin function _Z23fp32_router_gemm_kernelI14__hip_bfloat16Li128ELi29ELi256ELi3072EEvPfPKT_PKf
	.globl	_Z23fp32_router_gemm_kernelI14__hip_bfloat16Li128ELi29ELi256ELi3072EEvPfPKT_PKf
	.p2align	8
	.type	_Z23fp32_router_gemm_kernelI14__hip_bfloat16Li128ELi29ELi256ELi3072EEvPfPKT_PKf,@function
_Z23fp32_router_gemm_kernelI14__hip_bfloat16Li128ELi29ELi256ELi3072EEvPfPKT_PKf: ; @_Z23fp32_router_gemm_kernelI14__hip_bfloat16Li128ELi29ELi256ELi3072EEvPfPKT_PKf
; %bb.0:
	scratch_store_b32 off, v0, off offset:72 ; 4-byte Folded Spill
	s_clause 0x1
	s_load_b128 s[4:7], s[0:1], 0x0
	s_load_b64 s[0:1], s[0:1], 0x10
	v_dual_mov_b32 v29, 0 :: v_dual_lshlrev_b32 v0, 3, v0
	s_mul_i32 s8, s15, 0xc00
	v_dual_mov_b32 v28, 0 :: v_dual_mov_b32 v27, 0
	s_delay_alu instid0(VALU_DEP_2)
	v_or_b32_e32 v1, 0x400, v0
	s_ashr_i32 s9, s8, 31
	v_dual_mov_b32 v26, 0 :: v_dual_mov_b32 v25, 0
	s_lshl_b64 s[8:9], s[8:9], 2
	s_clause 0x1
	scratch_store_b32 off, v1, off offset:64
	scratch_store_b32 off, v0, off offset:60
	v_or_b32_e32 v0, 0x800, v0
	v_dual_mov_b32 v24, 0 :: v_dual_mov_b32 v23, 0
	v_dual_mov_b32 v22, 0 :: v_dual_mov_b32 v21, 0
	;; [unrolled: 1-line block ×12, first 2 shown]
	s_waitcnt lgkmcnt(0)
	s_add_u32 s0, s0, s8
	s_mov_b32 s2, s15
	s_addc_u32 s1, s1, s9
	s_mov_b64 s[8:9], 0
	scratch_store_b32 off, v0, off offset:68 ; 4-byte Folded Spill
.LBB60_1:                               ; =>This Inner Loop Header: Depth=1
	s_clause 0x1
	scratch_load_b32 v0, off, off offset:60
	scratch_load_b32 v30, off, off offset:64
	s_cmp_eq_u32 s8, 1
	s_cselect_b32 vcc_lo, -1, 0
	s_cmp_eq_u32 s8, 2
	s_waitcnt vmcnt(0)
	v_cndmask_b32_e32 v33, v0, v30, vcc_lo
	scratch_load_b32 v0, off, off offset:68 ; 4-byte Folded Reload
	s_cselect_b32 vcc_lo, -1, 0
	s_add_u32 s8, s8, 1
	s_addc_u32 s9, s9, 0
	s_cmp_eq_u32 s8, 3
	s_waitcnt vmcnt(0)
	v_cndmask_b32_e32 v0, v33, v0, vcc_lo
	s_delay_alu instid0(VALU_DEP_1) | instskip(SKIP_2) | instid1(VALU_DEP_1)
	v_lshlrev_b32_e32 v35, 1, v0
	scratch_store_b32 off, v0, off          ; 4-byte Folded Spill
	v_add_co_u32 v34, s3, s6, v35
	v_add_co_ci_u32_e64 v36, null, s7, 0, s3
	global_load_b128 v[38:41], v35, s[6:7]
	v_add_co_u32 v42, vcc_lo, 0x1000, v34
	v_add_co_ci_u32_e32 v43, vcc_lo, 0, v36, vcc_lo
	v_add_co_u32 v46, vcc_lo, 0x3000, v34
	v_add_co_ci_u32_e32 v47, vcc_lo, 0, v36, vcc_lo
	;; [unrolled: 2-line block ×15, first 2 shown]
	s_clause 0xe
	global_load_b128 v[42:45], v[42:43], off offset:2048
	global_load_b128 v[46:49], v[46:47], off
	global_load_b128 v[50:53], v[50:51], off offset:2048
	global_load_b128 v[54:57], v[54:55], off
	;; [unrolled: 2-line block ×7, first 2 shown]
	global_load_b128 v[98:101], v[98:99], off offset:2048
	s_waitcnt vmcnt(15)
	v_lshlrev_b32_e32 v0, 16, v38
	scratch_store_b32 off, v0, off offset:4 ; 4-byte Folded Spill
	v_and_b32_e32 v0, 0xffff0000, v38
	scratch_store_b32 off, v0, off offset:8 ; 4-byte Folded Spill
	v_lshlrev_b32_e32 v0, 16, v39
	scratch_store_b32 off, v0, off offset:12 ; 4-byte Folded Spill
	v_and_b32_e32 v0, 0xffff0000, v39
	v_add_co_u32 v39, vcc_lo, 0x18000, v34
	scratch_store_b32 off, v0, off offset:24 ; 4-byte Folded Spill
	s_waitcnt vmcnt(14)
	v_lshlrev_b32_e32 v124, 16, v43
	s_waitcnt vmcnt(13)
	v_and_b32_e32 v104, 0xffff0000, v47
	v_and_b32_e32 v138, 0xffff0000, v43
	v_lshlrev_b32_e32 v139, 16, v44
	v_and_b32_e32 v144, 0xffff0000, v44
	s_waitcnt vmcnt(9)
	v_lshlrev_b32_e32 v112, 16, v62
	v_lshlrev_b32_e32 v107, 16, v42
	s_waitcnt vmcnt(7)
	v_lshlrev_b32_e32 v114, 16, v70
	v_and_b32_e32 v0, 0xffff0000, v40
	s_waitcnt vmcnt(5)
	v_lshlrev_b32_e32 v116, 16, v78
	v_lshlrev_b32_e32 v108, 16, v46
	v_and_b32_e32 v122, 0xffff0000, v42
	v_and_b32_e32 v123, 0xffff0000, v46
	scratch_store_b32 off, v0, off offset:48 ; 4-byte Folded Spill
	v_lshlrev_b32_e32 v0, 16, v41
	s_waitcnt vmcnt(1)
	v_lshlrev_b32_e32 v120, 16, v94
	v_lshlrev_b32_e32 v110, 16, v54
	;; [unrolled: 1-line block ×3, first 2 shown]
	v_add_co_ci_u32_e32 v40, vcc_lo, 0, v36, vcc_lo
	scratch_store_b32 off, v0, off offset:44 ; 4-byte Folded Spill
	v_and_b32_e32 v0, 0xffff0000, v41
	v_add_co_u32 v43, vcc_lo, 0x19000, v34
	v_add_co_ci_u32_e32 v44, vcc_lo, 0, v36, vcc_lo
	scratch_store_b32 off, v0, off offset:16 ; 4-byte Folded Spill
	v_lshlrev_b32_e32 v0, 16, v45
	v_and_b32_e32 v142, 0xffff0000, v48
	v_lshlrev_b32_e32 v145, 16, v52
	s_waitcnt vmcnt(0)
	v_lshlrev_b32_e32 v169, 16, v99
	v_and_b32_e32 v141, 0xffff0000, v52
	scratch_store_b32 off, v0, off offset:52 ; 4-byte Folded Spill
	v_and_b32_e32 v0, 0xffff0000, v45
	v_lshlrev_b32_e32 v148, 16, v57
	v_lshlrev_b32_e32 v150, 16, v61
	;; [unrolled: 1-line block ×4, first 2 shown]
	scratch_store_b32 off, v0, off offset:20 ; 4-byte Folded Spill
	v_lshlrev_b32_e32 v0, 16, v49
	v_and_b32_e32 v102, 0xffff0000, v50
	v_and_b32_e32 v105, 0xffff0000, v55
	;; [unrolled: 1-line block ×3, first 2 shown]
	v_lshlrev_b32_e32 v143, 16, v48
	scratch_store_b32 off, v0, off offset:56 ; 4-byte Folded Spill
	v_and_b32_e32 v0, 0xffff0000, v49
	scratch_store_b32 off, v0, off offset:28 ; 4-byte Folded Spill
	v_and_b32_e32 v0, 0xffff0000, v53
	;; [unrolled: 2-line block ×4, first 2 shown]
	scratch_store_b32 off, v0, off offset:40 ; 4-byte Folded Spill
	s_clause 0x1
	global_load_b128 v[39:42], v[39:40], off
	global_load_b128 v[43:46], v[43:44], off offset:2048
	s_waitcnt vmcnt(1)
	v_and_b32_e32 v173, 0xffff0000, v39
	v_lshlrev_b32_e32 v176, 16, v41
	v_lshlrev_b32_e32 v172, 16, v39
	v_add_co_u32 v39, vcc_lo, 0x1b000, v34
	v_lshlrev_b32_e32 v174, 16, v40
	v_and_b32_e32 v175, 0xffff0000, v40
	v_add_co_ci_u32_e32 v40, vcc_lo, 0, v36, vcc_lo
	s_waitcnt vmcnt(0)
	v_lshlrev_b32_e32 v180, 16, v43
	v_and_b32_e32 v181, 0xffff0000, v43
	v_add_co_u32 v43, vcc_lo, 0x1c000, v34
	v_lshlrev_b32_e32 v182, 16, v44
	v_and_b32_e32 v183, 0xffff0000, v44
	v_add_co_ci_u32_e32 v44, vcc_lo, 0, v36, vcc_lo
	v_and_b32_e32 v177, 0xffff0000, v41
	v_lshlrev_b32_e32 v178, 16, v42
	v_and_b32_e32 v179, 0xffff0000, v42
	v_lshlrev_b32_e32 v184, 16, v45
	;; [unrolled: 2-line block ×3, first 2 shown]
	v_and_b32_e32 v187, 0xffff0000, v46
	s_clause 0x1
	global_load_b128 v[39:42], v[39:40], off
	global_load_b128 v[43:46], v[43:44], off offset:2048
	v_lshlrev_b32_e32 v147, 16, v56
	s_waitcnt vmcnt(1)
	v_lshlrev_b32_e32 v188, 16, v39
	v_and_b32_e32 v189, 0xffff0000, v39
	v_add_co_u32 v39, vcc_lo, 0x1e000, v34
	v_lshlrev_b32_e32 v190, 16, v40
	v_and_b32_e32 v191, 0xffff0000, v40
	v_add_co_ci_u32_e32 v40, vcc_lo, 0, v36, vcc_lo
	s_waitcnt vmcnt(0)
	v_lshlrev_b32_e32 v196, 16, v43
	v_and_b32_e32 v197, 0xffff0000, v43
	v_add_co_u32 v43, vcc_lo, 0x1f000, v34
	v_and_b32_e32 v199, 0xffff0000, v44
	v_lshlrev_b32_e32 v200, 16, v45
	v_and_b32_e32 v193, 0xffff0000, v41
	v_lshlrev_b32_e32 v198, 16, v44
	v_add_co_ci_u32_e32 v44, vcc_lo, 0, v36, vcc_lo
	v_lshlrev_b32_e32 v192, 16, v41
	v_lshlrev_b32_e32 v194, 16, v42
	v_and_b32_e32 v195, 0xffff0000, v42
	v_and_b32_e32 v201, 0xffff0000, v45
	v_lshlrev_b32_e32 v202, 16, v46
	v_and_b32_e32 v203, 0xffff0000, v46
	s_clause 0x1
	global_load_b128 v[39:42], v[39:40], off
	global_load_b128 v[43:46], v[43:44], off offset:2048
	v_lshlrev_b32_e32 v125, 16, v47
	s_waitcnt vmcnt(1)
	v_and_b32_e32 v205, 0xffff0000, v39
	v_and_b32_e32 v209, 0xffff0000, v41
	v_lshlrev_b32_e32 v204, 16, v39
	v_add_co_u32 v39, vcc_lo, 0x21000, v34
	v_lshlrev_b32_e32 v206, 16, v40
	v_and_b32_e32 v207, 0xffff0000, v40
	v_add_co_ci_u32_e32 v40, vcc_lo, 0, v36, vcc_lo
	s_waitcnt vmcnt(0)
	v_lshlrev_b32_e32 v212, 16, v43
	v_and_b32_e32 v213, 0xffff0000, v43
	v_add_co_u32 v43, vcc_lo, 0x22000, v34
	v_lshlrev_b32_e32 v214, 16, v44
	v_and_b32_e32 v215, 0xffff0000, v44
	v_add_co_ci_u32_e32 v44, vcc_lo, 0, v36, vcc_lo
	v_lshlrev_b32_e32 v208, 16, v41
	v_lshlrev_b32_e32 v210, 16, v42
	v_and_b32_e32 v211, 0xffff0000, v42
	v_lshlrev_b32_e32 v216, 16, v45
	v_and_b32_e32 v217, 0xffff0000, v45
	;; [unrolled: 2-line block ×3, first 2 shown]
	s_clause 0x1
	global_load_b128 v[39:42], v[39:40], off
	global_load_b128 v[43:46], v[43:44], off offset:2048
	v_lshlrev_b32_e32 v127, 16, v55
	s_waitcnt vmcnt(1)
	v_lshlrev_b32_e32 v220, 16, v39
	v_and_b32_e32 v221, 0xffff0000, v39
	v_add_co_u32 v39, vcc_lo, 0x24000, v34
	v_lshlrev_b32_e32 v222, 16, v40
	s_waitcnt vmcnt(0)
	v_and_b32_e32 v233, 0xffff0000, v45
	v_and_b32_e32 v223, 0xffff0000, v40
	v_add_co_ci_u32_e32 v40, vcc_lo, 0, v36, vcc_lo
	v_lshlrev_b32_e32 v228, 16, v43
	v_and_b32_e32 v229, 0xffff0000, v43
	v_add_co_u32 v43, vcc_lo, 0x25000, v34
	v_lshlrev_b32_e32 v230, 16, v44
	v_and_b32_e32 v231, 0xffff0000, v44
	v_add_co_ci_u32_e32 v44, vcc_lo, 0, v36, vcc_lo
	v_lshlrev_b32_e32 v224, 16, v41
	v_and_b32_e32 v225, 0xffff0000, v41
	v_lshlrev_b32_e32 v226, 16, v42
	v_and_b32_e32 v227, 0xffff0000, v42
	v_lshlrev_b32_e32 v232, 16, v45
	v_lshlrev_b32_e32 v234, 16, v46
	v_and_b32_e32 v235, 0xffff0000, v46
	s_clause 0x1
	global_load_b128 v[39:42], v[39:40], off
	global_load_b128 v[43:46], v[43:44], off offset:2048
	s_waitcnt vmcnt(1)
	v_lshlrev_b32_e32 v236, 16, v39
	v_and_b32_e32 v237, 0xffff0000, v39
	v_add_co_u32 v39, vcc_lo, 0x27000, v34
	v_and_b32_e32 v239, 0xffff0000, v40
	v_lshlrev_b32_e32 v242, 16, v42
	v_lshlrev_b32_e32 v238, 16, v40
	v_add_co_ci_u32_e32 v40, vcc_lo, 0, v36, vcc_lo
	s_waitcnt vmcnt(0)
	v_lshlrev_b32_e32 v244, 16, v43
	v_and_b32_e32 v245, 0xffff0000, v43
	v_add_co_u32 v43, vcc_lo, 0x28000, v34
	v_lshlrev_b32_e32 v246, 16, v44
	v_and_b32_e32 v247, 0xffff0000, v44
	v_add_co_ci_u32_e32 v44, vcc_lo, 0, v36, vcc_lo
	v_lshlrev_b32_e32 v240, 16, v41
	v_and_b32_e32 v241, 0xffff0000, v41
	v_and_b32_e32 v243, 0xffff0000, v42
	v_lshlrev_b32_e32 v248, 16, v45
	v_and_b32_e32 v249, 0xffff0000, v45
	v_lshlrev_b32_e32 v250, 16, v46
	v_and_b32_e32 v251, 0xffff0000, v46
	s_clause 0x1
	global_load_b128 v[39:42], v[39:40], off
	global_load_b128 v[43:46], v[43:44], off offset:2048
	v_lshlrev_b32_e32 v146, 16, v53
	s_waitcnt vmcnt(1)
	v_lshlrev_b32_e32 v252, 16, v39
	v_and_b32_e32 v253, 0xffff0000, v39
	v_add_co_u32 v39, vcc_lo, 0x2a000, v34
	v_lshlrev_b32_e32 v254, 16, v40
	v_and_b32_e32 v255, 0xffff0000, v40
	v_add_co_ci_u32_e32 v40, vcc_lo, 0, v36, vcc_lo
	v_lshlrev_b32_e32 v47, 16, v41
	v_and_b32_e32 v50, 0xffff0000, v41
	v_lshlrev_b32_e32 v53, 16, v42
	v_and_b32_e32 v57, 0xffff0000, v42
	global_load_b128 v[39:42], v[39:40], off
	s_waitcnt vmcnt(1)
	v_lshlrev_b32_e32 v0, 16, v43
	v_and_b32_e32 v30, 0xffff0000, v43
	v_lshlrev_b32_e32 v32, 16, v44
	v_and_b32_e32 v35, 0xffff0000, v44
	;; [unrolled: 2-line block ×3, first 2 shown]
	v_lshlrev_b32_e32 v52, 16, v46
	s_waitcnt vmcnt(0)
	v_lshlrev_b32_e32 v34, 16, v39
	v_and_b32_e32 v36, 0xffff0000, v39
	scratch_load_b32 v39, off, off          ; 4-byte Folded Reload
	v_lshlrev_b32_e32 v31, 16, v40
	v_and_b32_e32 v140, 0xffff0000, v56
	v_and_b32_e32 v55, 0xffff0000, v42
	;; [unrolled: 1-line block ×3, first 2 shown]
	v_lshlrev_b32_e32 v126, 16, v51
	v_and_b32_e32 v33, 0xffff0000, v40
	v_lshlrev_b32_e32 v37, 16, v41
	v_and_b32_e32 v48, 0xffff0000, v41
	v_lshlrev_b32_e32 v51, 16, v42
	s_waitcnt vmcnt(0)
	v_lshlrev_b32_e32 v43, 2, v39
	s_clause 0x1
	global_load_b128 v[39:42], v43, s[0:1]
	global_load_b128 v[43:46], v43, s[0:1] offset:16
	scratch_load_b32 v61, off, off offset:4 ; 4-byte Folded Reload
	v_lshlrev_b32_e32 v133, 16, v79
	v_lshlrev_b32_e32 v118, 16, v86
	;; [unrolled: 1-line block ×8, first 2 shown]
	s_waitcnt vmcnt(2)
	v_dual_fmac_f32 v4, v39, v244 :: v_dual_lshlrev_b32 v131, 16, v71
	v_fmac_f32_e32 v2, v39, v0
	s_waitcnt vmcnt(0)
	v_fmac_f32_e32 v29, v39, v61
	s_clause 0x1
	scratch_load_b32 v61, off, off offset:8
	scratch_load_b32 v0, off, off offset:24
	v_fmac_f32_e32 v5, v39, v236
	v_fmac_f32_e32 v15, v39, v120
	;; [unrolled: 1-line block ×11, first 2 shown]
	s_delay_alu instid0(VALU_DEP_4) | instskip(SKIP_3) | instid1(VALU_DEP_4)
	v_dual_fmac_f32 v27, v40, v123 :: v_dual_and_b32 v54, 0xffff0000, v54
	v_fmac_f32_e32 v10, v39, v196
	v_dual_fmac_f32 v7, v39, v220 :: v_dual_and_b32 v86, 0xffff0000, v86
	v_fmac_f32_e32 v17, v39, v118
	v_dual_fmac_f32 v27, v41, v125 :: v_dual_lshlrev_b32 v136, 16, v91
	v_fmac_f32_e32 v13, v39, v172
	v_fmac_f32_e32 v23, v39, v112
	s_delay_alu instid0(VALU_DEP_4) | instskip(SKIP_4) | instid1(VALU_DEP_4)
	v_fmac_f32_e32 v17, v40, v86
	v_dual_fmac_f32 v11, v39, v188 :: v_dual_and_b32 v62, 0xffff0000, v62
	v_fmac_f32_e32 v6, v39, v228
	v_fmac_f32_e32 v3, v39, v252
	v_dual_fmac_f32 v28, v40, v122 :: v_dual_lshlrev_b32 v135, 16, v87
	v_dual_fmac_f32 v11, v40, v189 :: v_dual_lshlrev_b32 v130, 16, v67
	v_fmac_f32_e32 v23, v40, v62
	s_delay_alu instid0(VALU_DEP_3) | instskip(SKIP_2) | instid1(VALU_DEP_4)
	v_dual_fmac_f32 v17, v41, v135 :: v_dual_and_b32 v94, 0xffff0000, v94
	v_fmac_f32_e32 v1, v39, v34
	v_dual_fmac_f32 v9, v40, v205 :: v_dual_and_b32 v66, 0xffff0000, v66
	v_fmac_f32_e32 v23, v41, v129
	s_delay_alu instid0(VALU_DEP_4) | instskip(SKIP_4) | instid1(VALU_DEP_4)
	v_dual_fmac_f32 v15, v40, v94 :: v_dual_fmac_f32 v20, v39, v115
	v_fmac_f32_e32 v22, v39, v113
	v_dual_fmac_f32 v25, v40, v54 :: v_dual_lshlrev_b32 v128, 16, v59
	v_fmac_f32_e32 v16, v39, v119
	v_fmac_f32_e32 v8, v39, v212
	v_fmac_f32_e32 v22, v40, v66
	s_delay_alu instid0(VALU_DEP_4) | instskip(SKIP_2) | instid1(VALU_DEP_4)
	v_dual_fmac_f32 v25, v41, v127 :: v_dual_and_b32 v90, 0xffff0000, v90
	v_and_b32_e32 v67, 0xffff0000, v67
	v_dual_fmac_f32 v7, v40, v221 :: v_dual_and_b32 v70, 0xffff0000, v70
	v_fmac_f32_e32 v22, v41, v130
	s_delay_alu instid0(VALU_DEP_4)
	v_fmac_f32_e32 v16, v40, v90
	v_dual_fmac_f32 v1, v40, v36 :: v_dual_and_b32 v82, 0xffff0000, v82
	v_dual_fmac_f32 v4, v40, v245 :: v_dual_and_b32 v91, 0xffff0000, v91
	v_fmac_f32_e32 v21, v39, v114
	v_fmac_f32_e32 v18, v39, v117
	v_dual_fmac_f32 v3, v40, v253 :: v_dual_and_b32 v78, 0xffff0000, v78
	s_delay_alu instid0(VALU_DEP_3) | instskip(SKIP_1) | instid1(VALU_DEP_3)
	v_dual_fmac_f32 v21, v40, v70 :: v_dual_lshlrev_b32 v132, 16, v75
	v_and_b32_e32 v98, 0xffff0000, v98
	v_dual_fmac_f32 v19, v40, v78 :: v_dual_lshlrev_b32 v134, 16, v83
	v_dual_fmac_f32 v18, v40, v82 :: v_dual_and_b32 v63, 0xffff0000, v63
	v_dual_fmac_f32 v4, v41, v246 :: v_dual_lshlrev_b32 v155, 16, v72
	v_fmac_f32_e32 v21, v41, v131
	v_dual_fmac_f32 v14, v40, v98 :: v_dual_and_b32 v71, 0xffff0000, v71
	s_delay_alu instid0(VALU_DEP_4) | instskip(NEXT) | instid1(VALU_DEP_4)
	v_fmac_f32_e32 v18, v41, v134
	v_fmac_f32_e32 v4, v42, v247
	v_dual_fmac_f32 v8, v40, v213 :: v_dual_and_b32 v83, 0xffff0000, v83
	v_lshlrev_b32_e32 v151, 16, v64
	v_fmac_f32_e32 v7, v41, v222
	v_fmac_f32_e32 v23, v42, v63
	v_fmac_f32_e32 v19, v41, v133
	v_dual_fmac_f32 v8, v41, v214 :: v_dual_lshlrev_b32 v171, 16, v101
	v_fmac_f32_e32 v27, v42, v104
	v_dual_fmac_f32 v12, v40, v181 :: v_dual_and_b32 v75, 0xffff0000, v75
	v_fmac_f32_e32 v11, v41, v190
	v_dual_fmac_f32 v21, v42, v71 :: v_dual_lshlrev_b32 v166, 16, v93
	v_fmac_f32_e32 v2, v40, v30
	v_fmac_f32_e32 v28, v41, v124
	v_lshlrev_b32_e32 v157, 16, v76
	s_delay_alu instid0(VALU_DEP_4)
	v_fmac_f32_e32 v21, v43, v155
	v_fmac_f32_e32 v22, v42, v67
	v_fmac_f32_e32 v2, v41, v32
	v_fmac_f32_e32 v28, v42, v138
	v_fmac_f32_e32 v16, v41, v136
	v_lshlrev_b32_e32 v165, 16, v92
	v_dual_fmac_f32 v23, v43, v151 :: v_dual_and_b32 v92, 0xffff0000, v92
	v_fmac_f32_e32 v2, v42, v35
	s_delay_alu instid0(VALU_DEP_4)
	v_fmac_f32_e32 v16, v42, v91
	v_fmac_f32_e32 v25, v42, v105
	;; [unrolled: 1-line block ×6, first 2 shown]
	v_dual_fmac_f32 v11, v42, v191 :: v_dual_and_b32 v72, 0xffff0000, v72
	s_delay_alu instid0(VALU_DEP_3) | instskip(SKIP_4) | instid1(VALU_DEP_4)
	v_dual_fmac_f32 v2, v44, v49 :: v_dual_and_b32 v87, 0xffff0000, v87
	v_fmac_f32_e32 v6, v40, v229
	v_lshlrev_b32_e32 v152, 16, v65
	v_and_b32_e32 v65, 0xffff0000, v65
	v_lshlrev_b32_e32 v153, 16, v68
	v_dual_fmac_f32 v17, v42, v87 :: v_dual_fmac_f32 v6, v41, v230
	v_fmac_f32_e32 v16, v44, v92
	s_delay_alu instid0(VALU_DEP_3) | instskip(SKIP_1) | instid1(VALU_DEP_3)
	v_dual_fmac_f32 v21, v44, v72 :: v_dual_fmac_f32 v22, v43, v153
	v_dual_fmac_f32 v13, v40, v173 :: v_dual_and_b32 v58, 0xffff0000, v58
	v_fmac_f32_e32 v16, v45, v166
	v_fmac_f32_e32 v2, v45, v52
	s_delay_alu instid0(VALU_DEP_3) | instskip(NEXT) | instid1(VALU_DEP_4)
	v_fmac_f32_e32 v24, v40, v58
	v_dual_fmac_f32 v13, v41, v174 :: v_dual_lshlrev_b32 v154, 16, v69
	s_delay_alu instid0(VALU_DEP_2) | instskip(NEXT) | instid1(VALU_DEP_2)
	v_dual_fmac_f32 v24, v41, v128 :: v_dual_and_b32 v69, 0xffff0000, v69
	v_fmac_f32_e32 v13, v42, v175
	s_waitcnt vmcnt(1)
	v_fmac_f32_e32 v29, v40, v61
	scratch_load_b32 v61, off, off offset:12 ; 4-byte Folded Reload
	s_waitcnt vmcnt(0)
	v_fmac_f32_e32 v29, v41, v61
	s_delay_alu instid0(VALU_DEP_1) | instskip(SKIP_4) | instid1(VALU_DEP_3)
	v_fmac_f32_e32 v29, v42, v0
	scratch_load_b32 v0, off, off offset:48 ; 4-byte Folded Reload
	v_dual_fmac_f32 v26, v40, v102 :: v_dual_lshlrev_b32 v137, 16, v95
	v_and_b32_e32 v95, 0xffff0000, v95
	v_dual_fmac_f32 v29, v43, v106 :: v_dual_lshlrev_b32 v160, 16, v81
	v_dual_fmac_f32 v26, v41, v126 :: v_dual_and_b32 v81, 0xffff0000, v81
	v_dual_fmac_f32 v28, v43, v139 :: v_dual_lshlrev_b32 v159, 16, v80
	v_dual_fmac_f32 v15, v41, v137 :: v_dual_and_b32 v68, 0xffff0000, v68
	s_delay_alu instid0(VALU_DEP_3) | instskip(NEXT) | instid1(VALU_DEP_3)
	v_fmac_f32_e32 v26, v42, v103
	v_fmac_f32_e32 v28, v44, v144
	;; [unrolled: 1-line block ×3, first 2 shown]
	s_delay_alu instid0(VALU_DEP_4) | instskip(NEXT) | instid1(VALU_DEP_4)
	v_dual_fmac_f32 v15, v42, v95 :: v_dual_fmac_f32 v22, v44, v68
	v_fmac_f32_e32 v26, v43, v145
	v_fmac_f32_e32 v14, v41, v169
	;; [unrolled: 1-line block ×3, first 2 shown]
	v_dual_fmac_f32 v25, v43, v147 :: v_dual_lshlrev_b32 v164, 16, v89
	s_delay_alu instid0(VALU_DEP_4) | instskip(SKIP_4) | instid1(VALU_DEP_4)
	v_fmac_f32_e32 v26, v44, v141
	v_fmac_f32_e32 v22, v45, v154
	v_dual_fmac_f32 v5, v40, v237 :: v_dual_and_b32 v74, 0xffff0000, v74
	v_and_b32_e32 v59, 0xffff0000, v59
	v_and_b32_e32 v89, 0xffff0000, v89
	v_fmac_f32_e32 v22, v46, v69
	s_delay_alu instid0(VALU_DEP_4)
	v_fmac_f32_e32 v20, v40, v74
	v_fmac_f32_e32 v5, v41, v238
	v_dual_fmac_f32 v26, v45, v146 :: v_dual_and_b32 v101, 0xffff0000, v101
	v_dual_fmac_f32 v6, v42, v231 :: v_dual_lshlrev_b32 v161, 16, v84
	v_fmac_f32_e32 v24, v42, v59
	v_fmac_f32_e32 v20, v41, v132
	v_lshlrev_b32_e32 v163, 16, v88
	s_delay_alu instid0(VALU_DEP_4) | instskip(SKIP_4) | instid1(VALU_DEP_4)
	v_dual_fmac_f32 v6, v43, v232 :: v_dual_and_b32 v79, 0xffff0000, v79
	v_dual_fmac_f32 v10, v40, v197 :: v_dual_lshlrev_b32 v149, 16, v60
	v_and_b32_e32 v60, 0xffff0000, v60
	v_and_b32_e32 v88, 0xffff0000, v88
	v_fmac_f32_e32 v20, v42, v75
	v_dual_fmac_f32 v10, v41, v198 :: v_dual_and_b32 v99, 0xffff0000, v99
	v_fmac_f32_e32 v24, v43, v149
	v_dual_fmac_f32 v5, v42, v239 :: v_dual_lshlrev_b32 v158, 16, v77
	v_and_b32_e32 v77, 0xffff0000, v77
	v_dual_fmac_f32 v17, v43, v163 :: v_dual_lshlrev_b32 v168, 16, v97
	s_delay_alu instid0(VALU_DEP_4) | instskip(SKIP_2) | instid1(VALU_DEP_3)
	v_fmac_f32_e32 v24, v44, v60
	v_dual_fmac_f32 v19, v42, v79 :: v_dual_and_b32 v64, 0xffff0000, v64
	v_dual_fmac_f32 v14, v42, v99 :: v_dual_and_b32 v93, 0xffff0000, v93
	v_fmac_f32_e32 v24, v45, v150
	v_fmac_f32_e32 v6, v44, v233
	v_dual_fmac_f32 v7, v42, v223 :: v_dual_and_b32 v76, 0xffff0000, v76
	v_fmac_f32_e32 v23, v44, v64
	v_fmac_f32_e32 v11, v43, v192
	v_dual_fmac_f32 v13, v43, v176 :: v_dual_fmac_f32 v16, v46, v93
	s_delay_alu instid0(VALU_DEP_4) | instskip(SKIP_1) | instid1(VALU_DEP_3)
	v_fmac_f32_e32 v7, v43, v224
	v_dual_fmac_f32 v10, v42, v199 :: v_dual_and_b32 v97, 0xffff0000, v97
	v_fmac_f32_e32 v13, v44, v177
	v_dual_fmac_f32 v23, v45, v152 :: v_dual_fmac_f32 v20, v43, v157
	v_dual_fmac_f32 v17, v44, v88 :: v_dual_fmac_f32 v18, v43, v161
	v_dual_fmac_f32 v12, v42, v183 :: v_dual_lshlrev_b32 v167, 16, v96
	v_lshlrev_b32_e32 v170, 16, v100
	v_fmac_f32_e32 v10, v43, v200
	v_dual_fmac_f32 v19, v43, v159 :: v_dual_and_b32 v96, 0xffff0000, v96
	v_fmac_f32_e32 v11, v44, v193
	v_dual_fmac_f32 v23, v46, v65 :: v_dual_fmac_f32 v20, v44, v76
	v_fmac_f32_e32 v17, v45, v164
	v_fmac_f32_e32 v15, v43, v167
	;; [unrolled: 1-line block ×4, first 2 shown]
	s_delay_alu instid0(VALU_DEP_4) | instskip(SKIP_1) | instid1(VALU_DEP_2)
	v_dual_fmac_f32 v20, v45, v158 :: v_dual_fmac_f32 v17, v46, v89
	v_dual_fmac_f32 v3, v41, v254 :: v_dual_and_b32 v80, 0xffff0000, v80
	v_dual_fmac_f32 v15, v44, v96 :: v_dual_fmac_f32 v20, v46, v77
	v_fmac_f32_e32 v1, v41, v31
	s_delay_alu instid0(VALU_DEP_3)
	v_fmac_f32_e32 v3, v42, v255
	v_fmac_f32_e32 v25, v44, v140
	v_and_b32_e32 v84, 0xffff0000, v84
	v_and_b32_e32 v100, 0xffff0000, v100
	v_fmac_f32_e32 v19, v44, v80
	v_fmac_f32_e32 v3, v43, v47
	v_fmac_f32_e32 v25, v45, v148
	v_dual_fmac_f32 v1, v42, v33 :: v_dual_fmac_f32 v18, v44, v84
	v_fmac_f32_e32 v14, v44, v100
	v_fmac_f32_e32 v15, v45, v168
	;; [unrolled: 1-line block ×3, first 2 shown]
	s_delay_alu instid0(VALU_DEP_4) | instskip(NEXT) | instid1(VALU_DEP_3)
	v_fmac_f32_e32 v1, v43, v37
	v_fmac_f32_e32 v15, v46, v97
	s_delay_alu instid0(VALU_DEP_2) | instskip(NEXT) | instid1(VALU_DEP_1)
	v_fmac_f32_e32 v1, v44, v48
	v_fmac_f32_e32 v1, v45, v51
	v_fmac_f32_e32 v5, v43, v240
	v_fmac_f32_e32 v12, v43, v184
	s_delay_alu instid0(VALU_DEP_1)
	v_fmac_f32_e32 v12, v44, v185
	s_waitcnt vmcnt(0)
	v_fmac_f32_e32 v29, v44, v0
	scratch_load_b32 v0, off, off offset:44 ; 4-byte Folded Reload
	v_lshlrev_b32_e32 v162, 16, v85
	v_and_b32_e32 v85, 0xffff0000, v85
	v_fmac_f32_e32 v19, v45, v160
	s_delay_alu instid0(VALU_DEP_1) | instskip(SKIP_4) | instid1(VALU_DEP_1)
	v_fmac_f32_e32 v19, v46, v81
	s_waitcnt vmcnt(0)
	v_fmac_f32_e32 v29, v45, v0
	scratch_load_b32 v0, off, off offset:16 ; 4-byte Folded Reload
	v_dual_fmac_f32 v18, v45, v162 :: v_dual_fmac_f32 v5, v44, v241
	v_fmac_f32_e32 v18, v46, v85
	s_waitcnt vmcnt(0)
	v_fmac_f32_e32 v29, v46, v0
	scratch_load_b32 v0, off, off offset:52 ; 4-byte Folded Reload
	v_fmac_f32_e32 v12, v45, v186
	s_delay_alu instid0(VALU_DEP_1)
	v_fmac_f32_e32 v12, v46, v187
	s_waitcnt vmcnt(0)
	v_fmac_f32_e32 v28, v45, v0
	scratch_load_b32 v0, off, off offset:56 ; 4-byte Folded Reload
	v_fmac_f32_e32 v7, v44, v225
	v_dual_fmac_f32 v9, v41, v206 :: v_dual_lshlrev_b32 v156, 16, v73
	v_and_b32_e32 v73, 0xffff0000, v73
	s_delay_alu instid0(VALU_DEP_3) | instskip(NEXT) | instid1(VALU_DEP_3)
	v_fmac_f32_e32 v7, v45, v226
	v_fmac_f32_e32 v9, v42, v207
	s_delay_alu instid0(VALU_DEP_4) | instskip(NEXT) | instid1(VALU_DEP_2)
	v_fmac_f32_e32 v21, v45, v156
	v_fmac_f32_e32 v9, v43, v208
	;; [unrolled: 1-line block ×3, first 2 shown]
	s_delay_alu instid0(VALU_DEP_3) | instskip(NEXT) | instid1(VALU_DEP_3)
	v_fmac_f32_e32 v21, v46, v73
	v_fmac_f32_e32 v9, v44, v209
	s_delay_alu instid0(VALU_DEP_3) | instskip(SKIP_4) | instid1(VALU_DEP_4)
	v_dual_fmac_f32 v13, v46, v179 :: v_dual_fmac_f32 v4, v43, v248
	v_fmac_f32_e32 v10, v44, v201
	v_fmac_f32_e32 v8, v42, v215
	;; [unrolled: 1-line block ×6, first 2 shown]
	s_delay_alu instid0(VALU_DEP_4) | instskip(NEXT) | instid1(VALU_DEP_4)
	v_fmac_f32_e32 v14, v46, v101
	v_fmac_f32_e32 v9, v46, v211
	;; [unrolled: 1-line block ×4, first 2 shown]
	v_dual_fmac_f32 v4, v45, v250 :: v_dual_fmac_f32 v1, v46, v55
	v_fmac_f32_e32 v2, v46, v56
	s_waitcnt vmcnt(0)
	v_fmac_f32_e32 v27, v45, v0
	scratch_load_b32 v0, off, off offset:20 ; 4-byte Folded Reload
	v_dual_fmac_f32 v8, v43, v216 :: v_dual_fmac_f32 v11, v46, v195
	s_delay_alu instid0(VALU_DEP_1) | instskip(NEXT) | instid1(VALU_DEP_1)
	v_fmac_f32_e32 v8, v44, v217
	v_fmac_f32_e32 v8, v45, v218
	s_delay_alu instid0(VALU_DEP_1)
	v_fmac_f32_e32 v8, v46, v219
	s_waitcnt vmcnt(0)
	v_fmac_f32_e32 v28, v46, v0
	scratch_load_b32 v0, off, off offset:28 ; 4-byte Folded Reload
	v_fmac_f32_e32 v4, v46, v251
	s_waitcnt vmcnt(0)
	v_fmac_f32_e32 v27, v46, v0
	scratch_load_b32 v0, off, off offset:32 ; 4-byte Folded Reload
	v_fmac_f32_e32 v5, v45, v242
	s_delay_alu instid0(VALU_DEP_1)
	v_fmac_f32_e32 v5, v46, v243
	s_waitcnt vmcnt(0)
	v_fmac_f32_e32 v26, v46, v0
	scratch_load_b32 v0, off, off offset:36 ; 4-byte Folded Reload
	v_fmac_f32_e32 v3, v45, v53
	v_fmac_f32_e32 v6, v45, v234
	s_delay_alu instid0(VALU_DEP_1)
	v_fmac_f32_e32 v6, v46, v235
	s_waitcnt vmcnt(0)
	v_fmac_f32_e32 v25, v46, v0
	scratch_load_b32 v0, off, off offset:40 ; 4-byte Folded Reload
	s_waitcnt vmcnt(0)
	v_fmac_f32_e32 v24, v46, v0
	v_fmac_f32_e32 v3, v46, v57
	s_cbranch_scc0 .LBB60_1
; %bb.2:
	scratch_load_b32 v38, off, off offset:72 ; 4-byte Folded Reload
	v_mbcnt_lo_u32_b32 v33, -1, 0
	s_delay_alu instid0(VALU_DEP_1) | instskip(SKIP_1) | instid1(VALU_DEP_2)
	v_xor_b32_e32 v30, 16, v33
	v_xor_b32_e32 v31, 8, v33
	v_cmp_gt_i32_e32 vcc_lo, 32, v30
	v_cndmask_b32_e32 v30, v33, v30, vcc_lo
	s_delay_alu instid0(VALU_DEP_3) | instskip(SKIP_1) | instid1(VALU_DEP_1)
	v_cmp_gt_i32_e32 vcc_lo, 32, v31
	v_cndmask_b32_e32 v31, v33, v31, vcc_lo
	v_lshlrev_b32_e32 v31, 2, v31
	s_delay_alu instid0(VALU_DEP_4) | instskip(SKIP_4) | instid1(VALU_DEP_1)
	v_lshlrev_b32_e32 v30, 2, v30
	ds_bpermute_b32 v32, v30, v29
	s_waitcnt lgkmcnt(0)
	v_add_f32_e32 v32, v29, v32
	v_xor_b32_e32 v29, 4, v33
	v_cmp_gt_i32_e32 vcc_lo, 32, v29
	v_cndmask_b32_e32 v29, v33, v29, vcc_lo
	s_delay_alu instid0(VALU_DEP_1)
	v_lshlrev_b32_e32 v29, 2, v29
	ds_bpermute_b32 v34, v31, v32
	s_waitcnt lgkmcnt(0)
	v_add_f32_e32 v34, v32, v34
	v_xor_b32_e32 v32, 2, v33
	ds_bpermute_b32 v35, v29, v34
	v_cmp_gt_i32_e32 vcc_lo, 32, v32
	s_waitcnt lgkmcnt(0)
	v_dual_cndmask_b32 v32, v33, v32 :: v_dual_add_f32 v35, v34, v35
	v_xor_b32_e32 v34, 1, v33
	s_delay_alu instid0(VALU_DEP_1) | instskip(NEXT) | instid1(VALU_DEP_3)
	v_cmp_gt_i32_e32 vcc_lo, 32, v34
	v_dual_cndmask_b32 v33, v33, v34 :: v_dual_lshlrev_b32 v32, 2, v32
	ds_bpermute_b32 v36, v32, v35
	s_waitcnt lgkmcnt(0)
	v_dual_add_f32 v35, v35, v36 :: v_dual_lshlrev_b32 v34, 2, v33
	ds_bpermute_b32 v36, v34, v35
	s_waitcnt vmcnt(0)
	v_and_b32_e32 v33, 31, v38
	v_lshrrev_b32_e32 v37, 5, v38
	s_delay_alu instid0(VALU_DEP_2) | instskip(NEXT) | instid1(VALU_DEP_2)
	v_cmp_eq_u32_e32 vcc_lo, 0, v33
	v_lshlrev_b32_e32 v33, 2, v37
	s_and_saveexec_b32 s0, vcc_lo
	s_cbranch_execz .LBB60_4
; %bb.3:
	s_waitcnt lgkmcnt(0)
	v_add_f32_e32 v0, v35, v36
	ds_store_b32 v33, v0
.LBB60_4:
	s_or_b32 exec_lo, exec_lo, s0
	ds_bpermute_b32 v0, v30, v28
	s_waitcnt lgkmcnt(0)
	v_add_f32_e32 v0, v28, v0
	ds_bpermute_b32 v28, v31, v0
	s_waitcnt lgkmcnt(0)
	v_add_f32_e32 v0, v0, v28
	ds_bpermute_b32 v28, v29, v0
	s_waitcnt lgkmcnt(0)
	v_add_f32_e32 v0, v0, v28
	ds_bpermute_b32 v28, v32, v0
	s_waitcnt lgkmcnt(0)
	v_add_f32_e32 v28, v0, v28
	ds_bpermute_b32 v35, v34, v28
	s_and_saveexec_b32 s0, vcc_lo
	s_cbranch_execz .LBB60_6
; %bb.5:
	s_waitcnt lgkmcnt(0)
	v_add_f32_e32 v0, v28, v35
	ds_store_b32 v33, v0 offset:16
.LBB60_6:
	s_or_b32 exec_lo, exec_lo, s0
	ds_bpermute_b32 v0, v30, v27
	s_waitcnt lgkmcnt(0)
	v_add_f32_e32 v0, v27, v0
	ds_bpermute_b32 v27, v31, v0
	s_waitcnt lgkmcnt(0)
	v_add_f32_e32 v0, v0, v27
	ds_bpermute_b32 v27, v29, v0
	s_waitcnt lgkmcnt(0)
	v_add_f32_e32 v0, v0, v27
	ds_bpermute_b32 v27, v32, v0
	s_waitcnt lgkmcnt(0)
	v_add_f32_e32 v27, v0, v27
	ds_bpermute_b32 v28, v34, v27
	s_and_saveexec_b32 s0, vcc_lo
	s_cbranch_execz .LBB60_8
; %bb.7:
	s_waitcnt lgkmcnt(0)
	v_add_f32_e32 v0, v27, v28
	ds_store_b32 v33, v0 offset:32
.LBB60_8:
	;; [unrolled: 21-line block ×28, first 2 shown]
	s_or_b32 exec_lo, exec_lo, s0
	s_waitcnt lgkmcnt(0)
	s_waitcnt_vscnt null, 0x0
	s_barrier
	buffer_gl0_inv
	s_mov_b32 s0, exec_lo
	v_cmpx_eq_u32_e32 0, v38
	s_cbranch_execz .LBB60_62
; %bb.61:
	v_mov_b32_e32 v40, 0
	s_ashr_i32 s3, s2, 31
	ds_load_b128 v[0:3], v40
	ds_load_b128 v[4:7], v40 offset:16
	ds_load_b128 v[8:11], v40 offset:32
	;; [unrolled: 1-line block ×7, first 2 shown]
	s_lshl_b64 s[0:1], s[2:3], 2
	s_delay_alu instid0(SALU_CYCLE_1)
	s_add_u32 s0, s4, s0
	s_addc_u32 s1, s5, s1
	s_waitcnt lgkmcnt(4)
	v_add_f32_e32 v12, 0, v12
	v_add_f32_e32 v0, 0, v0
	s_waitcnt lgkmcnt(2)
	v_add_f32_e32 v20, 0, v20
	v_add_f32_e32 v4, 0, v4
	;; [unrolled: 1-line block ×3, first 2 shown]
	s_waitcnt lgkmcnt(0)
	v_add_f32_e32 v28, 0, v28
	v_add_f32_e32 v0, v0, v1
	v_dual_add_f32 v8, 0, v8 :: v_dual_add_f32 v1, v4, v5
	ds_load_b128 v[32:35], v40 offset:128
	ds_load_b128 v[36:39], v40 offset:144
	v_add_f32_e32 v1, v1, v6
	v_add_f32_e32 v5, v12, v13
	;; [unrolled: 1-line block ×4, first 2 shown]
	s_delay_alu instid0(VALU_DEP_4) | instskip(SKIP_1) | instid1(VALU_DEP_4)
	v_dual_add_f32 v8, v16, v17 :: v_dual_add_f32 v17, v1, v7
	v_add_f32_e32 v9, v20, v21
	v_dual_mov_b32 v21, 0x1000 :: v_dual_add_f32 v6, v13, v30
	s_waitcnt lgkmcnt(1)
	v_dual_add_f32 v7, 0, v32 :: v_dual_add_f32 v0, v0, v2
	v_add_f32_e32 v2, v4, v10
	v_add_f32_e32 v4, v5, v14
	v_dual_add_f32 v5, v8, v18 :: v_dual_add_f32 v24, 0, v24
	s_delay_alu instid0(VALU_DEP_3) | instskip(NEXT) | instid1(VALU_DEP_3)
	v_add_f32_e32 v18, v2, v11
	v_add_f32_e32 v20, v4, v15
	s_delay_alu instid0(VALU_DEP_3)
	v_dual_add_f32 v19, v5, v19 :: v_dual_add_f32 v12, v24, v25
	v_dual_add_f32 v25, v7, v33 :: v_dual_add_f32 v16, v0, v3
	ds_load_b128 v[0:3], v40 offset:160
	v_dual_add_f32 v24, v6, v31 :: v_dual_add_f32 v5, v12, v26
	s_waitcnt lgkmcnt(0)
	v_add_f32_e32 v0, 0, v0
	s_delay_alu instid0(VALU_DEP_1) | instskip(NEXT) | instid1(VALU_DEP_1)
	v_add_f32_e32 v0, v0, v1
	v_add_f32_e32 v0, v0, v2
	;; [unrolled: 1-line block ×3, first 2 shown]
	s_delay_alu instid0(VALU_DEP_1)
	v_add_f32_e32 v22, v4, v23
	v_add_f32_e32 v23, v5, v27
	ds_load_b128 v[4:7], v40 offset:176
	ds_load_b128 v[8:11], v40 offset:192
	v_add_f32_e32 v26, 0, v36
	ds_load_b128 v[12:15], v40 offset:208
	s_waitcnt lgkmcnt(2)
	v_add_f32_e32 v1, 0, v4
	s_delay_alu instid0(VALU_DEP_1)
	v_add_f32_e32 v1, v1, v5
	s_clause 0x7
	global_store_b32 v40, v16, s[0:1]
	global_store_b32 v40, v17, s[0:1] offset:1024
	global_store_b32 v40, v18, s[0:1] offset:2048
	;; [unrolled: 1-line block ×3, first 2 shown]
	global_store_b32 v21, v19, s[0:1]
	global_store_b32 v21, v22, s[0:1] offset:1024
	global_store_b32 v21, v23, s[0:1] offset:2048
	;; [unrolled: 1-line block ×3, first 2 shown]
	v_dual_add_f32 v24, v25, v34 :: v_dual_add_f32 v25, v26, v37
	ds_load_b128 v[16:19], v40 offset:224
	ds_load_b128 v[20:23], v40 offset:240
	v_dual_mov_b32 v37, 0x2000 :: v_dual_add_f32 v36, v24, v35
	v_add_f32_e32 v28, v25, v38
	ds_load_b128 v[24:27], v40 offset:256
	v_add_f32_e32 v38, v28, v39
	ds_load_b128 v[28:31], v40 offset:272
	ds_load_b128 v[32:35], v40 offset:288
	s_waitcnt lgkmcnt(6)
	v_dual_add_f32 v4, 0, v8 :: v_dual_add_f32 v39, v0, v3
	v_add_f32_e32 v0, v1, v6
	s_delay_alu instid0(VALU_DEP_2) | instskip(SKIP_4) | instid1(VALU_DEP_2)
	v_add_f32_e32 v2, v4, v9
	s_waitcnt lgkmcnt(5)
	v_add_f32_e32 v4, 0, v12
	s_waitcnt lgkmcnt(4)
	v_add_f32_e32 v3, 0, v16
	v_dual_add_f32 v1, v2, v10 :: v_dual_add_f32 v2, v4, v13
	s_waitcnt lgkmcnt(3)
	v_add_f32_e32 v4, 0, v20
	v_add_f32_e32 v20, v0, v7
	s_delay_alu instid0(VALU_DEP_3)
	v_dual_add_f32 v41, v1, v11 :: v_dual_add_f32 v0, v2, v14
	v_add_f32_e32 v1, v3, v17
	s_waitcnt lgkmcnt(2)
	v_dual_add_f32 v2, v4, v21 :: v_dual_add_f32 v3, 0, v24
	s_waitcnt lgkmcnt(1)
	v_dual_add_f32 v7, 0, v28 :: v_dual_add_f32 v24, v0, v15
	v_add_f32_e32 v4, v1, v18
	s_delay_alu instid0(VALU_DEP_3)
	v_dual_add_f32 v5, v2, v22 :: v_dual_add_f32 v6, v3, v25
	ds_load_b128 v[0:3], v40 offset:304
	s_waitcnt lgkmcnt(1)
	v_add_f32_e32 v8, 0, v32
	v_add_f32_e32 v22, v4, v19
	;; [unrolled: 1-line block ×3, first 2 shown]
	v_dual_add_f32 v25, v6, v26 :: v_dual_add_f32 v26, v7, v29
	s_delay_alu instid0(VALU_DEP_4)
	v_add_f32_e32 v28, v8, v33
	ds_load_b128 v[4:7], v40 offset:320
	ds_load_b128 v[8:11], v40 offset:336
	;; [unrolled: 1-line block ×4, first 2 shown]
	s_waitcnt lgkmcnt(4)
	v_dual_mov_b32 v21, 0x3000 :: v_dual_add_f32 v0, 0, v0
	s_waitcnt lgkmcnt(3)
	s_delay_alu instid0(VALU_DEP_1)
	v_dual_add_f32 v0, v0, v1 :: v_dual_add_f32 v1, 0, v4
	s_waitcnt lgkmcnt(2)
	v_add_f32_e32 v4, 0, v8
	s_waitcnt lgkmcnt(1)
	v_add_f32_e32 v8, 0, v12
	v_dual_add_f32 v0, v0, v2 :: v_dual_add_f32 v1, v1, v5
	s_waitcnt lgkmcnt(0)
	v_dual_add_f32 v5, 0, v16 :: v_dual_add_f32 v2, v4, v9
	s_delay_alu instid0(VALU_DEP_3) | instskip(NEXT) | instid1(VALU_DEP_3)
	v_add_f32_e32 v4, v8, v13
	v_add_f32_e32 v8, v0, v3
	;; [unrolled: 1-line block ×3, first 2 shown]
	s_delay_alu instid0(VALU_DEP_4)
	v_add_f32_e32 v5, v5, v17
	s_clause 0x7
	global_store_b32 v37, v36, s[0:1]
	global_store_b32 v37, v38, s[0:1] offset:1024
	global_store_b32 v37, v39, s[0:1] offset:2048
	;; [unrolled: 1-line block ×3, first 2 shown]
	global_store_b32 v21, v41, s[0:1]
	global_store_b32 v21, v24, s[0:1] offset:1024
	global_store_b32 v21, v22, s[0:1] offset:2048
	global_store_b32 v21, v23, s[0:1] offset:3072
	v_add_f32_e32 v20, v26, v30
	v_dual_add_f32 v21, v28, v34 :: v_dual_add_f32 v36, v25, v27
	v_add_f32_e32 v9, v2, v10
	s_delay_alu instid0(VALU_DEP_3) | instskip(NEXT) | instid1(VALU_DEP_3)
	v_dual_add_f32 v5, v5, v18 :: v_dual_add_f32 v38, v20, v31
	v_add_f32_e32 v39, v21, v35
	ds_load_b128 v[20:23], v40 offset:384
	ds_load_b128 v[0:3], v40 offset:400
	;; [unrolled: 1-line block ×5, first 2 shown]
	v_dual_mov_b32 v37, 0x4000 :: v_dual_add_f32 v4, v4, v14
	v_dual_add_f32 v6, v6, v7 :: v_dual_mov_b32 v7, 0x5000
	v_add_f32_e32 v5, v5, v19
	v_add_f32_e32 v9, v9, v11
	s_delay_alu instid0(VALU_DEP_4)
	v_add_f32_e32 v4, v4, v15
	s_clause 0x7
	global_store_b32 v37, v36, s[0:1]
	global_store_b32 v37, v38, s[0:1] offset:1024
	global_store_b32 v37, v39, s[0:1] offset:2048
	global_store_b32 v37, v8, s[0:1] offset:3072
	global_store_b32 v7, v6, s[0:1]
	global_store_b32 v7, v9, s[0:1] offset:1024
	global_store_b32 v7, v4, s[0:1] offset:2048
	;; [unrolled: 1-line block ×3, first 2 shown]
	s_waitcnt lgkmcnt(3)
	v_add_f32_e32 v0, 0, v0
	s_waitcnt lgkmcnt(2)
	v_add_f32_e32 v5, 0, v24
	v_add_f32_e32 v10, 0, v20
	s_waitcnt lgkmcnt(1)
	v_add_f32_e32 v6, 0, v28
	s_waitcnt lgkmcnt(0)
	v_dual_add_f32 v7, 0, v32 :: v_dual_add_f32 v0, v0, v1
	v_add_f32_e32 v1, v5, v25
	v_add_f32_e32 v4, v10, v21
	;; [unrolled: 1-line block ×3, first 2 shown]
	s_delay_alu instid0(VALU_DEP_4)
	v_add_f32_e32 v6, v7, v33
	v_add_f32_e32 v0, v0, v2
	;; [unrolled: 1-line block ×5, first 2 shown]
	v_dual_add_f32 v5, v6, v34 :: v_dual_mov_b32 v6, 0x6000
	v_add_f32_e32 v0, v0, v3
	s_delay_alu instid0(VALU_DEP_4) | instskip(SKIP_1) | instid1(VALU_DEP_4)
	v_add_f32_e32 v4, v4, v23
	v_add_f32_e32 v1, v1, v27
	;; [unrolled: 1-line block ×3, first 2 shown]
	v_dual_add_f32 v2, v2, v31 :: v_dual_mov_b32 v5, 0x7000
	s_clause 0x4
	global_store_b32 v6, v4, s[0:1]
	global_store_b32 v6, v0, s[0:1] offset:1024
	global_store_b32 v6, v1, s[0:1] offset:2048
	;; [unrolled: 1-line block ×3, first 2 shown]
	global_store_b32 v5, v3, s[0:1]
.LBB60_62:
	s_nop 0
	s_sendmsg sendmsg(MSG_DEALLOC_VGPRS)
	s_endpgm
	.section	.rodata,"a",@progbits
	.p2align	6, 0x0
	.amdhsa_kernel _Z23fp32_router_gemm_kernelI14__hip_bfloat16Li128ELi29ELi256ELi3072EEvPfPKT_PKf
		.amdhsa_group_segment_fixed_size 464
		.amdhsa_private_segment_fixed_size 80
		.amdhsa_kernarg_size 24
		.amdhsa_user_sgpr_count 15
		.amdhsa_user_sgpr_dispatch_ptr 0
		.amdhsa_user_sgpr_queue_ptr 0
		.amdhsa_user_sgpr_kernarg_segment_ptr 1
		.amdhsa_user_sgpr_dispatch_id 0
		.amdhsa_user_sgpr_private_segment_size 0
		.amdhsa_wavefront_size32 1
		.amdhsa_uses_dynamic_stack 0
		.amdhsa_enable_private_segment 1
		.amdhsa_system_sgpr_workgroup_id_x 1
		.amdhsa_system_sgpr_workgroup_id_y 0
		.amdhsa_system_sgpr_workgroup_id_z 0
		.amdhsa_system_sgpr_workgroup_info 0
		.amdhsa_system_vgpr_workitem_id 0
		.amdhsa_next_free_vgpr 256
		.amdhsa_next_free_sgpr 16
		.amdhsa_reserve_vcc 1
		.amdhsa_float_round_mode_32 0
		.amdhsa_float_round_mode_16_64 0
		.amdhsa_float_denorm_mode_32 3
		.amdhsa_float_denorm_mode_16_64 3
		.amdhsa_dx10_clamp 1
		.amdhsa_ieee_mode 1
		.amdhsa_fp16_overflow 0
		.amdhsa_workgroup_processor_mode 1
		.amdhsa_memory_ordered 1
		.amdhsa_forward_progress 0
		.amdhsa_shared_vgpr_count 0
		.amdhsa_exception_fp_ieee_invalid_op 0
		.amdhsa_exception_fp_denorm_src 0
		.amdhsa_exception_fp_ieee_div_zero 0
		.amdhsa_exception_fp_ieee_overflow 0
		.amdhsa_exception_fp_ieee_underflow 0
		.amdhsa_exception_fp_ieee_inexact 0
		.amdhsa_exception_int_div_zero 0
	.end_amdhsa_kernel
	.section	.text._Z23fp32_router_gemm_kernelI14__hip_bfloat16Li128ELi29ELi256ELi3072EEvPfPKT_PKf,"axG",@progbits,_Z23fp32_router_gemm_kernelI14__hip_bfloat16Li128ELi29ELi256ELi3072EEvPfPKT_PKf,comdat
.Lfunc_end60:
	.size	_Z23fp32_router_gemm_kernelI14__hip_bfloat16Li128ELi29ELi256ELi3072EEvPfPKT_PKf, .Lfunc_end60-_Z23fp32_router_gemm_kernelI14__hip_bfloat16Li128ELi29ELi256ELi3072EEvPfPKT_PKf
                                        ; -- End function
	.section	.AMDGPU.csdata,"",@progbits
; Kernel info:
; codeLenInByte = 8188
; NumSgprs: 18
; NumVgprs: 256
; ScratchSize: 80
; MemoryBound: 0
; FloatMode: 240
; IeeeMode: 1
; LDSByteSize: 464 bytes/workgroup (compile time only)
; SGPRBlocks: 2
; VGPRBlocks: 31
; NumSGPRsForWavesPerEU: 18
; NumVGPRsForWavesPerEU: 256
; Occupancy: 5
; WaveLimiterHint : 1
; COMPUTE_PGM_RSRC2:SCRATCH_EN: 1
; COMPUTE_PGM_RSRC2:USER_SGPR: 15
; COMPUTE_PGM_RSRC2:TRAP_HANDLER: 0
; COMPUTE_PGM_RSRC2:TGID_X_EN: 1
; COMPUTE_PGM_RSRC2:TGID_Y_EN: 0
; COMPUTE_PGM_RSRC2:TGID_Z_EN: 0
; COMPUTE_PGM_RSRC2:TIDIG_COMP_CNT: 0
	.section	.text._Z23fp32_router_gemm_kernelI14__hip_bfloat16Li128ELi30ELi256ELi3072EEvPfPKT_PKf,"axG",@progbits,_Z23fp32_router_gemm_kernelI14__hip_bfloat16Li128ELi30ELi256ELi3072EEvPfPKT_PKf,comdat
	.protected	_Z23fp32_router_gemm_kernelI14__hip_bfloat16Li128ELi30ELi256ELi3072EEvPfPKT_PKf ; -- Begin function _Z23fp32_router_gemm_kernelI14__hip_bfloat16Li128ELi30ELi256ELi3072EEvPfPKT_PKf
	.globl	_Z23fp32_router_gemm_kernelI14__hip_bfloat16Li128ELi30ELi256ELi3072EEvPfPKT_PKf
	.p2align	8
	.type	_Z23fp32_router_gemm_kernelI14__hip_bfloat16Li128ELi30ELi256ELi3072EEvPfPKT_PKf,@function
_Z23fp32_router_gemm_kernelI14__hip_bfloat16Li128ELi30ELi256ELi3072EEvPfPKT_PKf: ; @_Z23fp32_router_gemm_kernelI14__hip_bfloat16Li128ELi30ELi256ELi3072EEvPfPKT_PKf
; %bb.0:
	scratch_store_b32 off, v0, off offset:108 ; 4-byte Folded Spill
	s_clause 0x1
	s_load_b128 s[4:7], s[0:1], 0x0
	s_load_b64 s[0:1], s[0:1], 0x10
	v_dual_mov_b32 v29, 0 :: v_dual_lshlrev_b32 v0, 3, v0
	s_mul_i32 s8, s15, 0xc00
	v_dual_mov_b32 v30, 0 :: v_dual_mov_b32 v27, 0
	s_delay_alu instid0(VALU_DEP_2)
	v_or_b32_e32 v1, 0x400, v0
	s_ashr_i32 s9, s8, 31
	v_dual_mov_b32 v28, 0 :: v_dual_mov_b32 v25, 0
	s_lshl_b64 s[8:9], s[8:9], 2
	s_clause 0x1
	scratch_store_b32 off, v1, off offset:100
	scratch_store_b32 off, v0, off offset:96
	v_or_b32_e32 v0, 0x800, v0
	v_dual_mov_b32 v26, 0 :: v_dual_mov_b32 v23, 0
	v_dual_mov_b32 v24, 0 :: v_dual_mov_b32 v21, 0
	;; [unrolled: 1-line block ×12, first 2 shown]
	v_mov_b32_e32 v2, 0
	s_waitcnt lgkmcnt(0)
	s_add_u32 s0, s0, s8
	s_mov_b32 s2, s15
	s_addc_u32 s1, s1, s9
	s_mov_b64 s[8:9], 0
	scratch_store_b32 off, v0, off offset:104 ; 4-byte Folded Spill
.LBB61_1:                               ; =>This Inner Loop Header: Depth=1
	s_clause 0x1
	scratch_load_b32 v0, off, off offset:96
	scratch_load_b32 v31, off, off offset:100
	s_cmp_eq_u32 s8, 1
	s_cselect_b32 vcc_lo, -1, 0
	s_cmp_eq_u32 s8, 2
	s_waitcnt vmcnt(0)
	v_cndmask_b32_e32 v34, v0, v31, vcc_lo
	scratch_load_b32 v0, off, off offset:104 ; 4-byte Folded Reload
	s_cselect_b32 vcc_lo, -1, 0
	s_add_u32 s8, s8, 1
	s_addc_u32 s9, s9, 0
	s_cmp_eq_u32 s8, 3
	s_waitcnt vmcnt(0)
	v_cndmask_b32_e32 v0, v34, v0, vcc_lo
	s_delay_alu instid0(VALU_DEP_1) | instskip(SKIP_2) | instid1(VALU_DEP_1)
	v_lshlrev_b32_e32 v35, 1, v0
	global_load_b128 v[39:42], v35, s[6:7]
	v_add_co_u32 v36, s3, s6, v35
	v_add_co_ci_u32_e64 v37, null, s7, 0, s3
	s_delay_alu instid0(VALU_DEP_2) | instskip(NEXT) | instid1(VALU_DEP_2)
	v_add_co_u32 v43, vcc_lo, 0x1000, v36
	v_add_co_ci_u32_e32 v44, vcc_lo, 0, v37, vcc_lo
	v_add_co_u32 v47, vcc_lo, 0x3000, v36
	v_add_co_ci_u32_e32 v48, vcc_lo, 0, v37, vcc_lo
	;; [unrolled: 2-line block ×15, first 2 shown]
	s_waitcnt vmcnt(0)
	v_lshlrev_b32_e32 v143, 16, v41
	scratch_store_b32 off, v0, off          ; 4-byte Folded Spill
	s_clause 0xe
	global_load_b128 v[43:46], v[43:44], off offset:2048
	global_load_b128 v[47:50], v[47:48], off
	global_load_b128 v[51:54], v[51:52], off offset:2048
	global_load_b128 v[55:58], v[55:56], off
	;; [unrolled: 2-line block ×7, first 2 shown]
	global_load_b128 v[99:102], v[99:100], off offset:2048
	s_waitcnt vmcnt(14)
	v_and_b32_e32 v139, 0xffff0000, v44
	v_lshlrev_b32_e32 v145, 16, v45
	s_waitcnt vmcnt(12)
	v_lshlrev_b32_e32 v110, 16, v51
	s_waitcnt vmcnt(11)
	;; [unrolled: 2-line block ×3, first 2 shown]
	v_and_b32_e32 v105, 0xffff0000, v59
	v_lshlrev_b32_e32 v112, 16, v59
	s_waitcnt vmcnt(8)
	v_lshlrev_b32_e32 v114, 16, v67
	v_lshlrev_b32_e32 v125, 16, v44
	s_waitcnt vmcnt(6)
	v_lshlrev_b32_e32 v116, 16, v75
	v_and_b32_e32 v159, 0xffff0000, v45
	s_waitcnt vmcnt(4)
	v_lshlrev_b32_e32 v118, 16, v83
	v_lshlrev_b32_e32 v109, 16, v47
	s_waitcnt vmcnt(2)
	v_lshlrev_b32_e32 v120, 16, v91
	v_and_b32_e32 v123, 0xffff0000, v43
	s_waitcnt vmcnt(0)
	v_lshlrev_b32_e32 v122, 16, v99
	v_lshlrev_b32_e32 v108, 16, v43
	;; [unrolled: 1-line block ×3, first 2 shown]
	v_and_b32_e32 v124, 0xffff0000, v47
	v_lshlrev_b32_e32 v128, 16, v56
	v_and_b32_e32 v155, 0xffff0000, v53
	v_and_b32_e32 v147, 0xffff0000, v69
	scratch_store_b32 off, v0, off offset:4 ; 4-byte Folded Spill
	v_and_b32_e32 v0, 0xffff0000, v39
	v_and_b32_e32 v151, 0xffff0000, v61
	v_lshlrev_b32_e32 v170, 16, v100
	v_lshlrev_b32_e32 v144, 16, v49
	;; [unrolled: 1-line block ×3, first 2 shown]
	scratch_store_b32 off, v0, off offset:8 ; 4-byte Folded Spill
	v_lshlrev_b32_e32 v0, 16, v40
	v_and_b32_e32 v149, 0xffff0000, v65
	v_lshlrev_b32_e32 v150, 16, v61
	v_lshlrev_b32_e32 v127, 16, v52
	;; [unrolled: 1-line block ×3, first 2 shown]
	scratch_store_b32 off, v0, off offset:12 ; 4-byte Folded Spill
	v_and_b32_e32 v0, 0xffff0000, v40
	v_add_co_u32 v40, vcc_lo, 0x18000, v36
	scratch_store_b32 off, v0, off offset:32 ; 4-byte Folded Spill
	v_and_b32_e32 v0, 0xffff0000, v41
	v_add_co_ci_u32_e32 v41, vcc_lo, 0, v37, vcc_lo
	v_add_co_u32 v44, vcc_lo, 0x19000, v36
	scratch_store_b32 off, v0, off offset:64 ; 4-byte Folded Spill
	v_lshlrev_b32_e32 v0, 16, v42
	v_add_co_ci_u32_e32 v45, vcc_lo, 0, v37, vcc_lo
	scratch_store_b32 off, v0, off offset:56 ; 4-byte Folded Spill
	v_and_b32_e32 v0, 0xffff0000, v42
	scratch_store_b32 off, v0, off offset:16 ; 4-byte Folded Spill
	v_lshlrev_b32_e32 v0, 16, v46
	scratch_store_b32 off, v0, off offset:60 ; 4-byte Folded Spill
	v_and_b32_e32 v0, 0xffff0000, v46
	scratch_store_b32 off, v0, off offset:20 ; 4-byte Folded Spill
	v_lshlrev_b32_e32 v0, 16, v50
	;; [unrolled: 4-line block ×8, first 2 shown]
	scratch_store_b32 off, v0, off offset:92 ; 4-byte Folded Spill
	v_and_b32_e32 v0, 0xffff0000, v74
	scratch_store_b32 off, v0, off offset:52 ; 4-byte Folded Spill
	s_clause 0x1
	global_load_b128 v[40:43], v[40:41], off
	global_load_b128 v[44:47], v[44:45], off offset:2048
	s_waitcnt vmcnt(1)
	v_lshlrev_b32_e32 v173, 16, v40
	v_and_b32_e32 v174, 0xffff0000, v40
	v_add_co_u32 v40, vcc_lo, 0x1b000, v36
	v_lshlrev_b32_e32 v175, 16, v41
	v_and_b32_e32 v176, 0xffff0000, v41
	v_add_co_ci_u32_e32 v41, vcc_lo, 0, v37, vcc_lo
	v_lshlrev_b32_e32 v177, 16, v42
	s_waitcnt vmcnt(0)
	v_lshlrev_b32_e32 v181, 16, v44
	v_and_b32_e32 v182, 0xffff0000, v44
	v_add_co_u32 v44, vcc_lo, 0x1c000, v36
	v_lshlrev_b32_e32 v183, 16, v45
	v_and_b32_e32 v186, 0xffff0000, v46
	v_and_b32_e32 v184, 0xffff0000, v45
	v_add_co_ci_u32_e32 v45, vcc_lo, 0, v37, vcc_lo
	v_and_b32_e32 v178, 0xffff0000, v42
	v_lshlrev_b32_e32 v179, 16, v43
	v_and_b32_e32 v180, 0xffff0000, v43
	v_lshlrev_b32_e32 v185, 16, v46
	v_lshlrev_b32_e32 v187, 16, v47
	v_and_b32_e32 v188, 0xffff0000, v47
	s_clause 0x1
	global_load_b128 v[40:43], v[40:41], off
	global_load_b128 v[44:47], v[44:45], off offset:2048
	s_waitcnt vmcnt(1)
	v_and_b32_e32 v190, 0xffff0000, v40
	v_lshlrev_b32_e32 v193, 16, v42
	v_lshlrev_b32_e32 v189, 16, v40
	v_add_co_u32 v40, vcc_lo, 0x1e000, v36
	v_lshlrev_b32_e32 v191, 16, v41
	s_waitcnt vmcnt(0)
	v_and_b32_e32 v202, 0xffff0000, v46
	v_and_b32_e32 v192, 0xffff0000, v41
	v_add_co_ci_u32_e32 v41, vcc_lo, 0, v37, vcc_lo
	v_lshlrev_b32_e32 v197, 16, v44
	v_and_b32_e32 v198, 0xffff0000, v44
	v_add_co_u32 v44, vcc_lo, 0x1f000, v36
	v_lshlrev_b32_e32 v199, 16, v45
	v_and_b32_e32 v200, 0xffff0000, v45
	v_add_co_ci_u32_e32 v45, vcc_lo, 0, v37, vcc_lo
	v_and_b32_e32 v194, 0xffff0000, v42
	v_lshlrev_b32_e32 v195, 16, v43
	v_and_b32_e32 v196, 0xffff0000, v43
	v_lshlrev_b32_e32 v201, 16, v46
	v_lshlrev_b32_e32 v203, 16, v47
	v_and_b32_e32 v204, 0xffff0000, v47
	s_clause 0x1
	global_load_b128 v[40:43], v[40:41], off
	global_load_b128 v[44:47], v[44:45], off offset:2048
	v_and_b32_e32 v103, 0xffff0000, v51
	v_lshlrev_b32_e32 v130, 16, v64
	v_and_b32_e32 v153, 0xffff0000, v57
	v_and_b32_e32 v104, 0xffff0000, v55
	s_waitcnt vmcnt(1)
	v_lshlrev_b32_e32 v205, 16, v40
	v_and_b32_e32 v206, 0xffff0000, v40
	v_add_co_u32 v40, vcc_lo, 0x21000, v36
	v_lshlrev_b32_e32 v207, 16, v41
	v_and_b32_e32 v208, 0xffff0000, v41
	v_add_co_ci_u32_e32 v41, vcc_lo, 0, v37, vcc_lo
	s_waitcnt vmcnt(0)
	v_lshlrev_b32_e32 v213, 16, v44
	v_and_b32_e32 v214, 0xffff0000, v44
	v_add_co_u32 v44, vcc_lo, 0x22000, v36
	v_lshlrev_b32_e32 v215, 16, v45
	v_and_b32_e32 v216, 0xffff0000, v45
	v_add_co_ci_u32_e32 v45, vcc_lo, 0, v37, vcc_lo
	v_lshlrev_b32_e32 v209, 16, v42
	v_and_b32_e32 v210, 0xffff0000, v42
	v_lshlrev_b32_e32 v211, 16, v43
	v_and_b32_e32 v212, 0xffff0000, v43
	;; [unrolled: 2-line block ×4, first 2 shown]
	s_clause 0x1
	global_load_b128 v[40:43], v[40:41], off
	global_load_b128 v[44:47], v[44:45], off offset:2048
	v_lshlrev_b32_e32 v146, 16, v53
	v_and_b32_e32 v141, 0xffff0000, v48
	v_and_b32_e32 v140, 0xffff0000, v60
	s_waitcnt vmcnt(1)
	v_lshlrev_b32_e32 v221, 16, v40
	v_and_b32_e32 v222, 0xffff0000, v40
	v_add_co_u32 v40, vcc_lo, 0x24000, v36
	v_lshlrev_b32_e32 v223, 16, v41
	v_and_b32_e32 v224, 0xffff0000, v41
	v_add_co_ci_u32_e32 v41, vcc_lo, 0, v37, vcc_lo
	s_waitcnt vmcnt(0)
	v_lshlrev_b32_e32 v229, 16, v44
	v_lshlrev_b32_e32 v235, 16, v47
	v_and_b32_e32 v230, 0xffff0000, v44
	v_add_co_u32 v44, vcc_lo, 0x25000, v36
	v_lshlrev_b32_e32 v231, 16, v45
	v_and_b32_e32 v232, 0xffff0000, v45
	v_add_co_ci_u32_e32 v45, vcc_lo, 0, v37, vcc_lo
	v_lshlrev_b32_e32 v225, 16, v42
	v_and_b32_e32 v226, 0xffff0000, v42
	v_lshlrev_b32_e32 v227, 16, v43
	v_and_b32_e32 v228, 0xffff0000, v43
	;; [unrolled: 2-line block ×3, first 2 shown]
	v_and_b32_e32 v236, 0xffff0000, v47
	s_clause 0x1
	global_load_b128 v[40:43], v[40:41], off
	global_load_b128 v[44:47], v[44:45], off offset:2048
	v_and_b32_e32 v107, 0xffff0000, v52
	v_and_b32_e32 v142, 0xffff0000, v64
	;; [unrolled: 1-line block ×4, first 2 shown]
	s_waitcnt vmcnt(1)
	v_lshlrev_b32_e32 v237, 16, v40
	v_and_b32_e32 v238, 0xffff0000, v40
	v_add_co_u32 v40, vcc_lo, 0x27000, v36
	v_lshlrev_b32_e32 v239, 16, v41
	v_and_b32_e32 v240, 0xffff0000, v41
	v_add_co_ci_u32_e32 v41, vcc_lo, 0, v37, vcc_lo
	s_waitcnt vmcnt(0)
	v_lshlrev_b32_e32 v245, 16, v44
	v_and_b32_e32 v246, 0xffff0000, v44
	v_add_co_u32 v44, vcc_lo, 0x28000, v36
	v_and_b32_e32 v242, 0xffff0000, v42
	v_lshlrev_b32_e32 v247, 16, v45
	v_and_b32_e32 v248, 0xffff0000, v45
	v_add_co_ci_u32_e32 v45, vcc_lo, 0, v37, vcc_lo
	v_lshlrev_b32_e32 v241, 16, v42
	v_lshlrev_b32_e32 v243, 16, v43
	v_and_b32_e32 v244, 0xffff0000, v43
	v_lshlrev_b32_e32 v249, 16, v46
	v_and_b32_e32 v250, 0xffff0000, v46
	;; [unrolled: 2-line block ×3, first 2 shown]
	s_clause 0x1
	global_load_b128 v[40:43], v[40:41], off
	global_load_b128 v[44:47], v[44:45], off offset:2048
	v_and_b32_e32 v100, 0xffff0000, v100
	v_lshlrev_b32_e32 v154, 16, v69
	s_waitcnt vmcnt(1)
	v_lshlrev_b32_e32 v253, 16, v40
	s_waitcnt vmcnt(0)
	v_and_b32_e32 v66, 0xffff0000, v47
	v_and_b32_e32 v254, 0xffff0000, v40
	v_add_co_u32 v40, vcc_lo, 0x2a000, v36
	v_lshlrev_b32_e32 v255, 16, v41
	v_and_b32_e32 v50, 0xffff0000, v41
	v_add_co_ci_u32_e32 v41, vcc_lo, 0, v37, vcc_lo
	v_add_co_u32 v36, vcc_lo, 0x2b000, v36
	v_add_co_ci_u32_e32 v37, vcc_lo, 0, v37, vcc_lo
	v_lshlrev_b32_e32 v54, 16, v42
	v_and_b32_e32 v58, 0xffff0000, v42
	v_lshlrev_b32_e32 v62, 16, v43
	v_and_b32_e32 v69, 0xffff0000, v43
	v_lshlrev_b32_e32 v31, 16, v44
	v_lshlrev_b32_e32 v126, 16, v48
	v_and_b32_e32 v157, 0xffff0000, v49
	v_and_b32_e32 v33, 0xffff0000, v44
	v_lshlrev_b32_e32 v38, 16, v45
	v_lshlrev_b32_e32 v148, 16, v57
	v_and_b32_e32 v49, 0xffff0000, v45
	v_lshlrev_b32_e32 v53, 16, v46
	v_and_b32_e32 v57, 0xffff0000, v46
	v_lshlrev_b32_e32 v61, 16, v47
	s_clause 0x1
	global_load_b128 v[40:43], v[40:41], off
	global_load_b128 v[44:47], v[36:37], off offset:2048
	s_waitcnt vmcnt(1)
	v_lshlrev_b32_e32 v36, 16, v40
	v_and_b32_e32 v37, 0xffff0000, v40
	scratch_load_b32 v40, off, off          ; 4-byte Folded Reload
	s_waitcnt vmcnt(1)
	v_lshlrev_b32_e32 v0, 16, v44
	v_and_b32_e32 v32, 0xffff0000, v44
	v_lshlrev_b32_e32 v35, 16, v41
	v_and_b32_e32 v48, 0xffff0000, v41
	;; [unrolled: 2-line block ×7, first 2 shown]
	s_waitcnt vmcnt(0)
	v_lshlrev_b32_e32 v44, 2, v40
	s_clause 0x1
	global_load_b128 v[40:43], v44, s[0:1]
	global_load_b128 v[44:47], v44, s[0:1] offset:16
	scratch_load_b32 v74, off, off offset:4 ; 4-byte Folded Reload
	v_and_b32_e32 v67, 0xffff0000, v67
	s_waitcnt vmcnt(2)
	v_dual_fmac_f32 v2, v40, v36 :: v_dual_and_b32 v75, 0xffff0000, v75
	v_fmac_f32_e32 v1, v40, v0
	s_waitcnt vmcnt(0)
	v_fmac_f32_e32 v30, v40, v74
	s_clause 0x1
	scratch_load_b32 v74, off, off offset:8
	scratch_load_b32 v0, off, off offset:32
	v_fmac_f32_e32 v3, v40, v31
	v_fmac_f32_e32 v9, v40, v213
	;; [unrolled: 1-line block ×4, first 2 shown]
	v_lshlrev_b32_e32 v132, 16, v72
	v_dual_fmac_f32 v3, v41, v33 :: v_dual_and_b32 v72, 0xffff0000, v72
	v_dual_fmac_f32 v28, v40, v109 :: v_dual_lshlrev_b32 v115, 16, v71
	v_dual_fmac_f32 v4, v40, v253 :: v_dual_and_b32 v71, 0xffff0000, v71
	s_delay_alu instid0(VALU_DEP_3) | instskip(SKIP_2) | instid1(VALU_DEP_3)
	v_fmac_f32_e32 v3, v42, v38
	v_dual_fmac_f32 v11, v40, v197 :: v_dual_lshlrev_b32 v70, 16, v78
	v_fmac_f32_e32 v25, v40, v112
	v_dual_fmac_f32 v22, v40, v115 :: v_dual_fmac_f32 v3, v43, v49
	v_lshlrev_b32_e32 v172, 16, v102
	v_dual_fmac_f32 v12, v40, v189 :: v_dual_lshlrev_b32 v133, 16, v76
	s_delay_alu instid0(VALU_DEP_3) | instskip(SKIP_1) | instid1(VALU_DEP_3)
	v_dual_fmac_f32 v22, v41, v71 :: v_dual_fmac_f32 v3, v44, v53
	v_dual_fmac_f32 v6, v41, v238 :: v_dual_fmac_f32 v5, v40, v245
	v_dual_fmac_f32 v12, v41, v190 :: v_dual_fmac_f32 v7, v40, v229
	s_delay_alu instid0(VALU_DEP_3)
	v_fmac_f32_e32 v3, v45, v57
	v_fmac_f32_e32 v1, v41, v32
	;; [unrolled: 1-line block ×6, first 2 shown]
	v_dual_fmac_f32 v1, v42, v34 :: v_dual_lshlrev_b32 v158, 16, v77
	v_fmac_f32_e32 v13, v41, v182
	s_delay_alu instid0(VALU_DEP_4) | instskip(NEXT) | instid1(VALU_DEP_4)
	v_fmac_f32_e32 v7, v42, v231
	v_fmac_f32_e32 v3, v47, v66
	s_delay_alu instid0(VALU_DEP_4) | instskip(SKIP_2) | instid1(VALU_DEP_3)
	v_dual_fmac_f32 v1, v43, v39 :: v_dual_fmac_f32 v4, v41, v254
	v_lshlrev_b32_e32 v165, 16, v90
	v_dual_fmac_f32 v28, v41, v124 :: v_dual_and_b32 v83, 0xffff0000, v83
	v_dual_fmac_f32 v1, v44, v51 :: v_dual_and_b32 v102, 0xffff0000, v102
	s_delay_alu instid0(VALU_DEP_4) | instskip(NEXT) | instid1(VALU_DEP_3)
	v_dual_fmac_f32 v4, v42, v255 :: v_dual_fmac_f32 v17, v40, v120
	v_fmac_f32_e32 v28, v42, v126
	v_dual_fmac_f32 v21, v41, v75 :: v_dual_lshlrev_b32 v134, 16, v80
	s_delay_alu instid0(VALU_DEP_3) | instskip(SKIP_1) | instid1(VALU_DEP_2)
	v_dual_fmac_f32 v4, v43, v50 :: v_dual_lshlrev_b32 v121, 16, v95
	v_dual_fmac_f32 v14, v40, v173 :: v_dual_and_b32 v95, 0xffff0000, v95
	v_dual_fmac_f32 v1, v45, v55 :: v_dual_fmac_f32 v4, v44, v54
	s_delay_alu instid0(VALU_DEP_3) | instskip(SKIP_2) | instid1(VALU_DEP_4)
	v_fmac_f32_e32 v16, v40, v121
	v_fmac_f32_e32 v27, v40, v110
	;; [unrolled: 1-line block ×3, first 2 shown]
	v_dual_fmac_f32 v1, v46, v59 :: v_dual_fmac_f32 v4, v45, v58
	s_delay_alu instid0(VALU_DEP_4) | instskip(NEXT) | instid1(VALU_DEP_4)
	v_fmac_f32_e32 v16, v41, v95
	v_dual_fmac_f32 v27, v41, v103 :: v_dual_lshlrev_b32 v136, 16, v88
	s_delay_alu instid0(VALU_DEP_4) | instskip(SKIP_1) | instid1(VALU_DEP_3)
	v_fmac_f32_e32 v19, v41, v83
	v_dual_fmac_f32 v23, v41, v67 :: v_dual_and_b32 v80, 0xffff0000, v80
	v_fmac_f32_e32 v27, v42, v127
	v_dual_fmac_f32 v9, v41, v214 :: v_dual_fmac_f32 v22, v42, v132
	v_dual_fmac_f32 v2, v41, v37 :: v_dual_lshlrev_b32 v161, 16, v82
	v_lshlrev_b32_e32 v171, 16, v101
	v_fmac_f32_e32 v1, v47, v64
	s_delay_alu instid0(VALU_DEP_4)
	v_fmac_f32_e32 v22, v43, v72
	v_fmac_f32_e32 v4, v46, v62
	v_dual_fmac_f32 v8, v40, v221 :: v_dual_fmac_f32 v5, v41, v246
	v_fmac_f32_e32 v21, v42, v133
	v_fmac_f32_e32 v2, v42, v35
	;; [unrolled: 1-line block ×3, first 2 shown]
	s_delay_alu instid0(VALU_DEP_4) | instskip(SKIP_4) | instid1(VALU_DEP_3)
	v_fmac_f32_e32 v8, v41, v222
	v_lshlrev_b32_e32 v163, 16, v86
	v_fmac_f32_e32 v5, v42, v247
	v_fmac_f32_e32 v27, v43, v107
	v_fmac_f32_e32 v2, v43, v48
	v_dual_fmac_f32 v8, v42, v223 :: v_dual_fmac_f32 v5, v43, v248
	s_delay_alu instid0(VALU_DEP_2) | instskip(NEXT) | instid1(VALU_DEP_2)
	v_fmac_f32_e32 v2, v44, v52
	v_dual_fmac_f32 v8, v43, v224 :: v_dual_fmac_f32 v5, v44, v249
	s_delay_alu instid0(VALU_DEP_2) | instskip(NEXT) | instid1(VALU_DEP_1)
	v_fmac_f32_e32 v2, v45, v56
	v_dual_fmac_f32 v5, v45, v250 :: v_dual_fmac_f32 v2, v46, v60
	s_delay_alu instid0(VALU_DEP_1) | instskip(SKIP_1) | instid1(VALU_DEP_3)
	v_fmac_f32_e32 v5, v46, v251
	v_fmac_f32_e32 v7, v43, v232
	;; [unrolled: 1-line block ×3, first 2 shown]
	s_delay_alu instid0(VALU_DEP_2) | instskip(NEXT) | instid1(VALU_DEP_1)
	v_fmac_f32_e32 v7, v44, v233
	v_fmac_f32_e32 v7, v45, v234
	;; [unrolled: 1-line block ×3, first 2 shown]
	s_waitcnt vmcnt(1)
	v_fmac_f32_e32 v30, v41, v74
	scratch_load_b32 v74, off, off offset:12 ; 4-byte Folded Reload
	v_lshlrev_b32_e32 v113, 16, v63
	v_and_b32_e32 v63, 0xffff0000, v63
	v_fmac_f32_e32 v26, v40, v111
	s_delay_alu instid0(VALU_DEP_1) | instskip(SKIP_4) | instid1(VALU_DEP_3)
	v_fmac_f32_e32 v26, v41, v104
	s_waitcnt vmcnt(0)
	v_dual_fmac_f32 v30, v42, v74 :: v_dual_lshlrev_b32 v117, 16, v79
	v_dual_fmac_f32 v24, v40, v113 :: v_dual_and_b32 v79, 0xffff0000, v79
	v_lshlrev_b32_e32 v131, 16, v68
	v_fmac_f32_e32 v30, v43, v0
	scratch_load_b32 v0, off, off offset:64 ; 4-byte Folded Reload
	v_dual_fmac_f32 v24, v41, v63 :: v_dual_lshlrev_b32 v167, 16, v94
	v_and_b32_e32 v68, 0xffff0000, v68
	v_fmac_f32_e32 v30, v44, v143
	v_dual_fmac_f32 v20, v40, v117 :: v_dual_lshlrev_b32 v119, 16, v87
	s_delay_alu instid0(VALU_DEP_4) | instskip(SKIP_1) | instid1(VALU_DEP_3)
	v_dual_fmac_f32 v24, v42, v130 :: v_dual_and_b32 v87, 0xffff0000, v87
	v_dual_fmac_f32 v23, v42, v131 :: v_dual_and_b32 v88, 0xffff0000, v88
	v_dual_fmac_f32 v18, v40, v119 :: v_dual_lshlrev_b32 v137, 16, v92
	v_and_b32_e32 v92, 0xffff0000, v92
	s_delay_alu instid0(VALU_DEP_4) | instskip(NEXT) | instid1(VALU_DEP_3)
	v_fmac_f32_e32 v24, v43, v142
	v_dual_fmac_f32 v23, v43, v68 :: v_dual_fmac_f32 v18, v41, v87
	v_dual_fmac_f32 v20, v41, v79 :: v_dual_lshlrev_b32 v135, 16, v84
	s_delay_alu instid0(VALU_DEP_2) | instskip(NEXT) | instid1(VALU_DEP_2)
	v_fmac_f32_e32 v18, v42, v136
	v_fmac_f32_e32 v19, v42, v135
	s_delay_alu instid0(VALU_DEP_3) | instskip(NEXT) | instid1(VALU_DEP_3)
	v_dual_fmac_f32 v20, v42, v134 :: v_dual_and_b32 v101, 0xffff0000, v101
	v_fmac_f32_e32 v18, v43, v88
	s_delay_alu instid0(VALU_DEP_2)
	v_fmac_f32_e32 v20, v43, v80
	s_waitcnt vmcnt(0)
	v_fmac_f32_e32 v30, v45, v0
	scratch_load_b32 v0, off, off offset:56 ; 4-byte Folded Reload
	s_waitcnt vmcnt(0)
	v_fmac_f32_e32 v30, v46, v0
	scratch_load_b32 v0, off, off offset:16 ; 4-byte Folded Reload
	v_fmac_f32_e32 v11, v42, v199
	s_delay_alu instid0(VALU_DEP_1)
	v_fmac_f32_e32 v11, v43, v200
	s_waitcnt vmcnt(0)
	v_fmac_f32_e32 v30, v47, v0
	scratch_load_b32 v0, off, off offset:60 ; 4-byte Folded Reload
	v_fmac_f32_e32 v8, v44, v225
	v_fmac_f32_e32 v10, v40, v205
	;; [unrolled: 1-line block ×5, first 2 shown]
	v_and_b32_e32 v84, 0xffff0000, v84
	s_delay_alu instid0(VALU_DEP_4) | instskip(SKIP_1) | instid1(VALU_DEP_4)
	v_dual_fmac_f32 v10, v41, v206 :: v_dual_fmac_f32 v25, v42, v129
	v_dual_fmac_f32 v28, v43, v141 :: v_dual_lshlrev_b32 v169, 16, v98
	v_dual_fmac_f32 v29, v41, v123 :: v_dual_and_b32 v76, 0xffff0000, v76
	v_dual_fmac_f32 v15, v41, v99 :: v_dual_and_b32 v98, 0xffff0000, v98
	v_fmac_f32_e32 v26, v42, v128
	s_delay_alu instid0(VALU_DEP_3) | instskip(NEXT) | instid1(VALU_DEP_4)
	v_fmac_f32_e32 v29, v42, v125
	v_dual_fmac_f32 v21, v43, v76 :: v_dual_lshlrev_b32 v166, 16, v93
	v_dual_fmac_f32 v25, v43, v140 :: v_dual_lshlrev_b32 v162, 16, v85
	s_delay_alu instid0(VALU_DEP_3) | instskip(NEXT) | instid1(VALU_DEP_3)
	v_dual_fmac_f32 v29, v43, v139 :: v_dual_and_b32 v78, 0xffff0000, v78
	v_fmac_f32_e32 v21, v44, v158
	v_fmac_f32_e32 v26, v43, v106
	;; [unrolled: 1-line block ×3, first 2 shown]
	s_delay_alu instid0(VALU_DEP_4) | instskip(SKIP_1) | instid1(VALU_DEP_4)
	v_fmac_f32_e32 v29, v44, v145
	v_dual_fmac_f32 v25, v44, v150 :: v_dual_lshlrev_b32 v168, 16, v97
	v_dual_fmac_f32 v26, v44, v148 :: v_dual_and_b32 v97, 0xffff0000, v97
	s_delay_alu instid0(VALU_DEP_3) | instskip(SKIP_4) | instid1(VALU_DEP_4)
	v_fmac_f32_e32 v29, v45, v159
	v_dual_fmac_f32 v14, v41, v174 :: v_dual_and_b32 v91, 0xffff0000, v91
	v_lshlrev_b32_e32 v138, 16, v96
	v_and_b32_e32 v96, 0xffff0000, v96
	v_fmac_f32_e32 v26, v45, v153
	v_fmac_f32_e32 v17, v41, v91
	v_dual_fmac_f32 v25, v45, v151 :: v_dual_fmac_f32 v24, v44, v152
	v_dual_fmac_f32 v16, v42, v138 :: v_dual_and_b32 v93, 0xffff0000, v93
	s_delay_alu instid0(VALU_DEP_3) | instskip(SKIP_1) | instid1(VALU_DEP_4)
	v_fmac_f32_e32 v17, v42, v137
	v_dual_fmac_f32 v14, v42, v175 :: v_dual_and_b32 v77, 0xffff0000, v77
	v_fmac_f32_e32 v24, v45, v149
	v_dual_fmac_f32 v10, v42, v207 :: v_dual_and_b32 v85, 0xffff0000, v85
	s_delay_alu instid0(VALU_DEP_4) | instskip(SKIP_2) | instid1(VALU_DEP_3)
	v_fmac_f32_e32 v17, v43, v92
	v_dual_fmac_f32 v16, v43, v96 :: v_dual_fmac_f32 v19, v44, v162
	v_fmac_f32_e32 v21, v45, v77
	v_fmac_f32_e32 v17, v44, v166
	v_dual_fmac_f32 v15, v42, v170 :: v_dual_fmac_f32 v28, v44, v144
	v_dual_fmac_f32 v11, v44, v201 :: v_dual_and_b32 v90, 0xffff0000, v90
	s_delay_alu instid0(VALU_DEP_3) | instskip(NEXT) | instid1(VALU_DEP_3)
	v_fmac_f32_e32 v17, v45, v93
	v_dual_fmac_f32 v15, v43, v100 :: v_dual_fmac_f32 v28, v45, v157
	v_dual_fmac_f32 v23, v44, v154 :: v_dual_lshlrev_b32 v164, 16, v89
	s_delay_alu instid0(VALU_DEP_3) | instskip(SKIP_1) | instid1(VALU_DEP_4)
	v_fmac_f32_e32 v17, v46, v167
	v_and_b32_e32 v89, 0xffff0000, v89
	v_dual_fmac_f32 v15, v44, v171 :: v_dual_and_b32 v82, 0xffff0000, v82
	s_delay_alu instid0(VALU_DEP_4) | instskip(SKIP_2) | instid1(VALU_DEP_3)
	v_dual_fmac_f32 v18, v44, v164 :: v_dual_fmac_f32 v9, v42, v215
	v_dual_fmac_f32 v27, v44, v146 :: v_dual_lshlrev_b32 v160, 16, v81
	v_dual_fmac_f32 v23, v45, v147 :: v_dual_lshlrev_b32 v156, 16, v73
	v_fmac_f32_e32 v9, v43, v216
	v_and_b32_e32 v73, 0xffff0000, v73
	s_delay_alu instid0(VALU_DEP_4) | instskip(NEXT) | instid1(VALU_DEP_4)
	v_fmac_f32_e32 v27, v45, v155
	v_dual_fmac_f32 v11, v45, v202 :: v_dual_fmac_f32 v22, v44, v156
	v_fmac_f32_e32 v14, v43, v176
	v_fmac_f32_e32 v16, v44, v168
	v_dual_fmac_f32 v9, v44, v217 :: v_dual_and_b32 v94, 0xffff0000, v94
	s_delay_alu instid0(VALU_DEP_4) | instskip(SKIP_4) | instid1(VALU_DEP_4)
	v_fmac_f32_e32 v22, v45, v73
	v_dual_fmac_f32 v15, v45, v101 :: v_dual_fmac_f32 v20, v44, v160
	v_fmac_f32_e32 v14, v44, v177
	v_fmac_f32_e32 v16, v45, v97
	v_fmac_f32_e32 v19, v45, v85
	v_fmac_f32_e32 v15, v46, v172
	v_fmac_f32_e32 v9, v45, v218
	v_fmac_f32_e32 v18, v45, v89
	v_fmac_f32_e32 v14, v45, v178
	v_fmac_f32_e32 v21, v46, v70
	v_fmac_f32_e32 v19, v46, v163
	v_dual_fmac_f32 v9, v46, v219 :: v_dual_fmac_f32 v8, v45, v226
	v_fmac_f32_e32 v18, v46, v165
	v_fmac_f32_e32 v16, v46, v169
	v_fmac_f32_e32 v14, v46, v179
	v_fmac_f32_e32 v11, v46, v203
	v_dual_fmac_f32 v8, v46, v227 :: v_dual_fmac_f32 v21, v47, v78
	v_fmac_f32_e32 v18, v47, v90
	v_fmac_f32_e32 v17, v47, v94
	;; [unrolled: 1-line block ×6, first 2 shown]
	s_waitcnt vmcnt(0)
	v_fmac_f32_e32 v29, v46, v0
	scratch_load_b32 v0, off, off offset:68 ; 4-byte Folded Reload
	v_fmac_f32_e32 v11, v47, v204
	v_fmac_f32_e32 v5, v47, v252
	s_waitcnt vmcnt(0)
	v_fmac_f32_e32 v28, v46, v0
	scratch_load_b32 v0, off, off offset:72 ; 4-byte Folded Reload
	s_waitcnt vmcnt(0)
	v_fmac_f32_e32 v27, v46, v0
	scratch_load_b32 v0, off, off offset:76 ; 4-byte Folded Reload
	v_fmac_f32_e32 v10, v43, v208
	s_delay_alu instid0(VALU_DEP_1)
	v_fmac_f32_e32 v10, v44, v209
	s_waitcnt vmcnt(0)
	v_fmac_f32_e32 v26, v46, v0
	scratch_load_b32 v0, off, off offset:80 ; 4-byte Folded Reload
	s_waitcnt vmcnt(0)
	v_dual_fmac_f32 v4, v47, v69 :: v_dual_fmac_f32 v25, v46, v0
	scratch_load_b32 v0, off, off offset:84 ; 4-byte Folded Reload
	v_fmac_f32_e32 v10, v45, v210
	s_delay_alu instid0(VALU_DEP_1)
	v_fmac_f32_e32 v10, v46, v211
	s_waitcnt vmcnt(0)
	v_fmac_f32_e32 v24, v46, v0
	scratch_load_b32 v0, off, off offset:88 ; 4-byte Folded Reload
	s_waitcnt vmcnt(0)
	v_fmac_f32_e32 v23, v46, v0
	scratch_load_b32 v0, off, off offset:92 ; 4-byte Folded Reload
	v_fmac_f32_e32 v10, v47, v212
	s_waitcnt vmcnt(0)
	v_fmac_f32_e32 v22, v46, v0
	scratch_load_b32 v0, off, off offset:20 ; 4-byte Folded Reload
	s_waitcnt vmcnt(0)
	v_fmac_f32_e32 v29, v47, v0
	scratch_load_b32 v0, off, off offset:24 ; 4-byte Folded Reload
	;; [unrolled: 7-line block ×3, first 2 shown]
	s_waitcnt vmcnt(0)
	v_fmac_f32_e32 v26, v47, v0
	scratch_load_b32 v0, off, off offset:40 ; 4-byte Folded Reload
	s_waitcnt vmcnt(0)
	v_fmac_f32_e32 v25, v47, v0
	scratch_load_b32 v0, off, off offset:44 ; 4-byte Folded Reload
	v_dual_fmac_f32 v6, v43, v240 :: v_dual_and_b32 v81, 0xffff0000, v81
	v_fmac_f32_e32 v12, v42, v191
	s_delay_alu instid0(VALU_DEP_2) | instskip(NEXT) | instid1(VALU_DEP_3)
	v_fmac_f32_e32 v6, v44, v241
	v_fmac_f32_e32 v20, v45, v81
	s_delay_alu instid0(VALU_DEP_3) | instskip(SKIP_1) | instid1(VALU_DEP_3)
	v_dual_fmac_f32 v12, v43, v192 :: v_dual_fmac_f32 v13, v42, v183
	v_fmac_f32_e32 v7, v46, v235
	v_fmac_f32_e32 v20, v46, v161
	s_delay_alu instid0(VALU_DEP_3) | instskip(NEXT) | instid1(VALU_DEP_3)
	v_dual_fmac_f32 v12, v44, v193 :: v_dual_fmac_f32 v13, v43, v184
	v_dual_fmac_f32 v7, v47, v236 :: v_dual_and_b32 v86, 0xffff0000, v86
	s_delay_alu instid0(VALU_DEP_3) | instskip(NEXT) | instid1(VALU_DEP_3)
	v_fmac_f32_e32 v20, v47, v82
	v_dual_fmac_f32 v12, v45, v194 :: v_dual_fmac_f32 v13, v44, v185
	s_delay_alu instid0(VALU_DEP_1) | instskip(NEXT) | instid1(VALU_DEP_1)
	v_dual_fmac_f32 v19, v47, v86 :: v_dual_fmac_f32 v12, v46, v195
	v_dual_fmac_f32 v13, v45, v186 :: v_dual_fmac_f32 v12, v47, v196
	s_delay_alu instid0(VALU_DEP_1) | instskip(NEXT) | instid1(VALU_DEP_1)
	v_fmac_f32_e32 v13, v46, v187
	v_fmac_f32_e32 v13, v47, v188
	s_waitcnt vmcnt(0)
	v_fmac_f32_e32 v24, v47, v0
	scratch_load_b32 v0, off, off offset:48 ; 4-byte Folded Reload
	s_waitcnt vmcnt(0)
	v_fmac_f32_e32 v23, v47, v0
	scratch_load_b32 v0, off, off offset:52 ; 4-byte Folded Reload
	v_fmac_f32_e32 v6, v45, v242
	s_delay_alu instid0(VALU_DEP_1) | instskip(NEXT) | instid1(VALU_DEP_1)
	v_fmac_f32_e32 v6, v46, v243
	v_fmac_f32_e32 v6, v47, v244
	s_waitcnt vmcnt(0)
	v_fmac_f32_e32 v22, v47, v0
	s_cbranch_scc0 .LBB61_1
; %bb.2:
	scratch_load_b32 v39, off, off offset:108 ; 4-byte Folded Reload
	v_mbcnt_lo_u32_b32 v34, -1, 0
	s_delay_alu instid0(VALU_DEP_1) | instskip(SKIP_1) | instid1(VALU_DEP_2)
	v_xor_b32_e32 v31, 16, v34
	v_xor_b32_e32 v32, 8, v34
	v_cmp_gt_i32_e32 vcc_lo, 32, v31
	v_cndmask_b32_e32 v31, v34, v31, vcc_lo
	s_delay_alu instid0(VALU_DEP_3) | instskip(SKIP_1) | instid1(VALU_DEP_1)
	v_cmp_gt_i32_e32 vcc_lo, 32, v32
	v_cndmask_b32_e32 v32, v34, v32, vcc_lo
	v_lshlrev_b32_e32 v32, 2, v32
	s_delay_alu instid0(VALU_DEP_4) | instskip(SKIP_4) | instid1(VALU_DEP_1)
	v_lshlrev_b32_e32 v31, 2, v31
	ds_bpermute_b32 v33, v31, v30
	s_waitcnt lgkmcnt(0)
	v_add_f32_e32 v33, v30, v33
	v_xor_b32_e32 v30, 4, v34
	v_cmp_gt_i32_e32 vcc_lo, 32, v30
	v_cndmask_b32_e32 v30, v34, v30, vcc_lo
	s_delay_alu instid0(VALU_DEP_1)
	v_lshlrev_b32_e32 v30, 2, v30
	ds_bpermute_b32 v35, v32, v33
	s_waitcnt lgkmcnt(0)
	v_add_f32_e32 v35, v33, v35
	v_xor_b32_e32 v33, 2, v34
	ds_bpermute_b32 v36, v30, v35
	v_cmp_gt_i32_e32 vcc_lo, 32, v33
	s_waitcnt lgkmcnt(0)
	v_dual_cndmask_b32 v33, v34, v33 :: v_dual_add_f32 v36, v35, v36
	v_xor_b32_e32 v35, 1, v34
	s_delay_alu instid0(VALU_DEP_1) | instskip(NEXT) | instid1(VALU_DEP_3)
	v_cmp_gt_i32_e32 vcc_lo, 32, v35
	v_dual_cndmask_b32 v34, v34, v35 :: v_dual_lshlrev_b32 v33, 2, v33
	ds_bpermute_b32 v37, v33, v36
	s_waitcnt lgkmcnt(0)
	v_dual_add_f32 v36, v36, v37 :: v_dual_lshlrev_b32 v35, 2, v34
	ds_bpermute_b32 v37, v35, v36
	s_waitcnt vmcnt(0)
	v_and_b32_e32 v34, 31, v39
	v_lshrrev_b32_e32 v38, 5, v39
	s_delay_alu instid0(VALU_DEP_2) | instskip(NEXT) | instid1(VALU_DEP_2)
	v_cmp_eq_u32_e32 vcc_lo, 0, v34
	v_lshlrev_b32_e32 v34, 2, v38
	s_and_saveexec_b32 s0, vcc_lo
	s_cbranch_execz .LBB61_4
; %bb.3:
	s_waitcnt lgkmcnt(0)
	v_add_f32_e32 v0, v36, v37
	ds_store_b32 v34, v0
.LBB61_4:
	s_or_b32 exec_lo, exec_lo, s0
	ds_bpermute_b32 v0, v31, v29
	s_waitcnt lgkmcnt(0)
	v_add_f32_e32 v0, v29, v0
	ds_bpermute_b32 v29, v32, v0
	s_waitcnt lgkmcnt(0)
	v_add_f32_e32 v0, v0, v29
	ds_bpermute_b32 v29, v30, v0
	s_waitcnt lgkmcnt(0)
	v_add_f32_e32 v0, v0, v29
	ds_bpermute_b32 v29, v33, v0
	s_waitcnt lgkmcnt(0)
	v_add_f32_e32 v29, v0, v29
	ds_bpermute_b32 v36, v35, v29
	s_and_saveexec_b32 s0, vcc_lo
	s_cbranch_execz .LBB61_6
; %bb.5:
	s_waitcnt lgkmcnt(0)
	v_add_f32_e32 v0, v29, v36
	ds_store_b32 v34, v0 offset:16
.LBB61_6:
	s_or_b32 exec_lo, exec_lo, s0
	ds_bpermute_b32 v0, v31, v28
	s_waitcnt lgkmcnt(0)
	v_add_f32_e32 v0, v28, v0
	ds_bpermute_b32 v28, v32, v0
	s_waitcnt lgkmcnt(0)
	v_add_f32_e32 v0, v0, v28
	ds_bpermute_b32 v28, v30, v0
	s_waitcnt lgkmcnt(0)
	v_add_f32_e32 v0, v0, v28
	ds_bpermute_b32 v28, v33, v0
	s_waitcnt lgkmcnt(0)
	v_add_f32_e32 v28, v0, v28
	ds_bpermute_b32 v29, v35, v28
	s_and_saveexec_b32 s0, vcc_lo
	s_cbranch_execz .LBB61_8
; %bb.7:
	s_waitcnt lgkmcnt(0)
	v_add_f32_e32 v0, v28, v29
	ds_store_b32 v34, v0 offset:32
.LBB61_8:
	;; [unrolled: 21-line block ×29, first 2 shown]
	s_or_b32 exec_lo, exec_lo, s0
	s_waitcnt lgkmcnt(0)
	s_waitcnt_vscnt null, 0x0
	s_barrier
	buffer_gl0_inv
	s_mov_b32 s0, exec_lo
	v_cmpx_eq_u32_e32 0, v39
	s_cbranch_execz .LBB61_64
; %bb.63:
	v_mov_b32_e32 v40, 0
	s_ashr_i32 s3, s2, 31
	ds_load_b128 v[0:3], v40
	ds_load_b128 v[4:7], v40 offset:16
	ds_load_b128 v[8:11], v40 offset:32
	;; [unrolled: 1-line block ×7, first 2 shown]
	s_lshl_b64 s[0:1], s[2:3], 2
	s_delay_alu instid0(SALU_CYCLE_1)
	s_add_u32 s0, s4, s0
	s_addc_u32 s1, s5, s1
	s_waitcnt lgkmcnt(4)
	v_add_f32_e32 v12, 0, v12
	v_add_f32_e32 v0, 0, v0
	s_waitcnt lgkmcnt(2)
	v_add_f32_e32 v20, 0, v20
	v_add_f32_e32 v4, 0, v4
	;; [unrolled: 3-line block ×3, first 2 shown]
	s_delay_alu instid0(VALU_DEP_3)
	v_add_f32_e32 v1, v4, v5
	ds_load_b128 v[32:35], v40 offset:128
	ds_load_b128 v[36:39], v40 offset:144
	v_add_f32_e32 v5, v12, v13
	v_add_f32_e32 v12, v24, v25
	;; [unrolled: 1-line block ×4, first 2 shown]
	s_delay_alu instid0(VALU_DEP_4) | instskip(NEXT) | instid1(VALU_DEP_2)
	v_add_f32_e32 v5, v5, v14
	v_add_f32_e32 v25, v6, v7
	s_delay_alu instid0(VALU_DEP_2) | instskip(SKIP_1) | instid1(VALU_DEP_1)
	v_dual_add_f32 v42, v5, v15 :: v_dual_add_f32 v5, v12, v26
	s_waitcnt lgkmcnt(2)
	v_dual_add_f32 v28, 0, v28 :: v_dual_add_f32 v27, v5, v27
	s_waitcnt lgkmcnt(1)
	s_delay_alu instid0(VALU_DEP_1) | instskip(SKIP_3) | instid1(VALU_DEP_3)
	v_dual_add_f32 v6, v28, v29 :: v_dual_add_f32 v7, 0, v32
	v_add_f32_e32 v0, v0, v2
	s_waitcnt lgkmcnt(0)
	v_add_f32_e32 v14, 0, v36
	v_dual_add_f32 v12, v6, v30 :: v_dual_add_f32 v13, v7, v33
	s_delay_alu instid0(VALU_DEP_3)
	v_add_f32_e32 v24, v0, v3
	ds_load_b128 v[0:3], v40 offset:160
	v_add_f32_e32 v29, v12, v31
	v_add_f32_e32 v31, v14, v37
	;; [unrolled: 1-line block ×3, first 2 shown]
	v_dual_add_f32 v30, v13, v34 :: v_dual_mov_b32 v37, 0x2000
	s_delay_alu instid0(VALU_DEP_1) | instskip(SKIP_2) | instid1(VALU_DEP_1)
	v_add_f32_e32 v36, v30, v35
	s_waitcnt lgkmcnt(0)
	v_add_f32_e32 v0, 0, v0
	v_dual_add_f32 v0, v0, v1 :: v_dual_add_f32 v1, v31, v38
	v_add_f32_e32 v4, v4, v10
	v_add_f32_e32 v16, 0, v16
	s_delay_alu instid0(VALU_DEP_3) | instskip(NEXT) | instid1(VALU_DEP_4)
	v_add_f32_e32 v0, v0, v2
	v_add_f32_e32 v38, v1, v39
	s_delay_alu instid0(VALU_DEP_4) | instskip(NEXT) | instid1(VALU_DEP_4)
	v_add_f32_e32 v41, v4, v11
	v_add_f32_e32 v8, v16, v17
	s_delay_alu instid0(VALU_DEP_4) | instskip(NEXT) | instid1(VALU_DEP_2)
	v_add_f32_e32 v39, v0, v3
	v_add_f32_e32 v8, v8, v18
	s_delay_alu instid0(VALU_DEP_1) | instskip(SKIP_1) | instid1(VALU_DEP_1)
	v_add_f32_e32 v43, v8, v19
	v_add_f32_e32 v9, v20, v21
	;; [unrolled: 1-line block ×3, first 2 shown]
	s_delay_alu instid0(VALU_DEP_1)
	v_add_f32_e32 v28, v4, v23
	ds_load_b128 v[4:7], v40 offset:176
	ds_load_b128 v[8:11], v40 offset:192
	;; [unrolled: 1-line block ×5, first 2 shown]
	s_waitcnt lgkmcnt(4)
	v_add_f32_e32 v4, 0, v4
	s_waitcnt lgkmcnt(3)
	v_add_f32_e32 v8, 0, v8
	s_delay_alu instid0(VALU_DEP_2) | instskip(NEXT) | instid1(VALU_DEP_2)
	v_add_f32_e32 v4, v4, v5
	v_add_f32_e32 v5, v8, v9
	s_waitcnt lgkmcnt(0)
	v_dual_add_f32 v9, 0, v20 :: v_dual_mov_b32 v26, 0x1000
	s_clause 0x7
	global_store_b32 v40, v24, s[0:1]
	global_store_b32 v40, v25, s[0:1] offset:1024
	global_store_b32 v40, v41, s[0:1] offset:2048
	;; [unrolled: 1-line block ×3, first 2 shown]
	global_store_b32 v26, v43, s[0:1]
	global_store_b32 v26, v28, s[0:1] offset:1024
	global_store_b32 v26, v27, s[0:1] offset:2048
	;; [unrolled: 1-line block ×3, first 2 shown]
	ds_load_b128 v[24:27], v40 offset:256
	ds_load_b128 v[0:3], v40 offset:272
	v_add_f32_e32 v4, v4, v6
	v_dual_add_f32 v5, v5, v10 :: v_dual_add_f32 v6, 0, v12
	v_add_f32_e32 v8, 0, v16
	ds_load_b128 v[28:31], v40 offset:288
	ds_load_b128 v[32:35], v40 offset:304
	v_add_f32_e32 v20, v4, v7
	v_dual_add_f32 v41, v5, v11 :: v_dual_add_f32 v6, v6, v13
	v_add_f32_e32 v4, v8, v17
	v_add_f32_e32 v5, v9, v21
	s_delay_alu instid0(VALU_DEP_3) | instskip(NEXT) | instid1(VALU_DEP_3)
	v_dual_mov_b32 v21, 0x3000 :: v_dual_add_f32 v6, v6, v14
	v_add_f32_e32 v4, v4, v18
	s_delay_alu instid0(VALU_DEP_2) | instskip(SKIP_1) | instid1(VALU_DEP_2)
	v_dual_add_f32 v5, v5, v22 :: v_dual_add_f32 v22, v6, v15
	s_waitcnt lgkmcnt(3)
	v_dual_add_f32 v7, 0, v24 :: v_dual_add_f32 v24, v4, v19
	s_waitcnt lgkmcnt(2)
	s_delay_alu instid0(VALU_DEP_2) | instskip(NEXT) | instid1(VALU_DEP_2)
	v_dual_add_f32 v23, v5, v23 :: v_dual_add_f32 v0, 0, v0
	v_add_f32_e32 v8, v7, v25
	ds_load_b128 v[4:7], v40 offset:320
	s_waitcnt lgkmcnt(2)
	v_dual_add_f32 v0, v0, v1 :: v_dual_add_f32 v1, 0, v28
	v_add_f32_e32 v25, v8, v26
	ds_load_b128 v[8:11], v40 offset:336
	ds_load_b128 v[12:15], v40 offset:352
	;; [unrolled: 1-line block ×3, first 2 shown]
	s_waitcnt lgkmcnt(4)
	v_add_f32_e32 v26, 0, v32
	v_dual_add_f32 v0, v0, v2 :: v_dual_add_f32 v1, v1, v29
	s_clause 0x7
	global_store_b32 v37, v36, s[0:1]
	global_store_b32 v37, v38, s[0:1] offset:1024
	global_store_b32 v37, v39, s[0:1] offset:2048
	;; [unrolled: 1-line block ×3, first 2 shown]
	global_store_b32 v21, v41, s[0:1]
	global_store_b32 v21, v22, s[0:1] offset:1024
	global_store_b32 v21, v24, s[0:1] offset:2048
	;; [unrolled: 1-line block ×3, first 2 shown]
	ds_load_b128 v[20:23], v40 offset:384
	v_add_f32_e32 v2, v26, v33
	v_dual_add_f32 v38, v0, v3 :: v_dual_add_f32 v1, v1, v30
	v_dual_add_f32 v36, v25, v27 :: v_dual_mov_b32 v37, 0x4000
	s_delay_alu instid0(VALU_DEP_2)
	v_dual_add_f32 v2, v2, v34 :: v_dual_add_f32 v39, v1, v31
	s_waitcnt lgkmcnt(4)
	v_add_f32_e32 v4, 0, v4
	s_waitcnt lgkmcnt(3)
	v_add_f32_e32 v1, 0, v8
	s_waitcnt lgkmcnt(2)
	s_delay_alu instid0(VALU_DEP_2) | instskip(SKIP_3) | instid1(VALU_DEP_3)
	v_dual_add_f32 v3, 0, v12 :: v_dual_add_f32 v0, v4, v5
	v_add_f32_e32 v8, v2, v35
	s_waitcnt lgkmcnt(1)
	v_dual_add_f32 v2, 0, v16 :: v_dual_add_f32 v1, v1, v9
	v_dual_add_f32 v3, v3, v13 :: v_dual_add_f32 v0, v0, v6
	v_mov_b32_e32 v12, 0x5000
	s_delay_alu instid0(VALU_DEP_3) | instskip(NEXT) | instid1(VALU_DEP_4)
	v_add_f32_e32 v4, v2, v17
	v_add_f32_e32 v10, v1, v10
	s_delay_alu instid0(VALU_DEP_4)
	v_add_f32_e32 v13, v3, v14
	v_add_f32_e32 v9, v0, v7
	ds_load_b128 v[0:3], v40 offset:400
	v_add_f32_e32 v16, v4, v18
	ds_load_b128 v[4:7], v40 offset:416
	ds_load_b128 v[24:27], v40 offset:432
	;; [unrolled: 1-line block ×4, first 2 shown]
	s_waitcnt lgkmcnt(5)
	v_add_f32_e32 v14, 0, v20
	v_add_f32_e32 v10, v10, v11
	;; [unrolled: 1-line block ×4, first 2 shown]
	s_clause 0x7
	global_store_b32 v37, v36, s[0:1]
	global_store_b32 v37, v38, s[0:1] offset:1024
	global_store_b32 v37, v39, s[0:1] offset:2048
	;; [unrolled: 1-line block ×3, first 2 shown]
	global_store_b32 v12, v9, s[0:1]
	global_store_b32 v12, v10, s[0:1] offset:1024
	global_store_b32 v12, v11, s[0:1] offset:2048
	;; [unrolled: 1-line block ×3, first 2 shown]
	v_dual_add_f32 v14, v14, v21 :: v_dual_mov_b32 v9, 0x6000
	s_delay_alu instid0(VALU_DEP_1) | instskip(NEXT) | instid1(VALU_DEP_1)
	v_add_f32_e32 v14, v14, v22
	v_add_f32_e32 v8, v14, v23
	s_waitcnt lgkmcnt(4)
	v_add_f32_e32 v0, 0, v0
	s_waitcnt lgkmcnt(3)
	;; [unrolled: 2-line block ×4, first 2 shown]
	v_dual_add_f32 v11, 0, v28 :: v_dual_add_f32 v0, v0, v1
	s_waitcnt lgkmcnt(0)
	v_dual_add_f32 v1, 0, v32 :: v_dual_add_f32 v4, v4, v5
	v_add_f32_e32 v5, v10, v25
	s_delay_alu instid0(VALU_DEP_3) | instskip(NEXT) | instid1(VALU_DEP_3)
	v_add_f32_e32 v10, v11, v29
	v_dual_add_f32 v0, v0, v2 :: v_dual_add_f32 v1, v1, v33
	s_delay_alu instid0(VALU_DEP_4) | instskip(NEXT) | instid1(VALU_DEP_4)
	v_add_f32_e32 v2, v4, v6
	v_add_f32_e32 v4, v5, v26
	s_delay_alu instid0(VALU_DEP_3) | instskip(NEXT) | instid1(VALU_DEP_3)
	v_dual_add_f32 v5, v10, v30 :: v_dual_add_f32 v0, v0, v3
	v_dual_add_f32 v1, v1, v34 :: v_dual_add_f32 v2, v2, v7
	s_delay_alu instid0(VALU_DEP_3) | instskip(NEXT) | instid1(VALU_DEP_3)
	v_add_f32_e32 v3, v4, v27
	v_dual_add_f32 v4, v5, v31 :: v_dual_mov_b32 v5, 0x7000
	s_delay_alu instid0(VALU_DEP_3)
	v_add_f32_e32 v1, v1, v35
	s_clause 0x5
	global_store_b32 v9, v8, s[0:1]
	global_store_b32 v9, v0, s[0:1] offset:1024
	global_store_b32 v9, v2, s[0:1] offset:2048
	;; [unrolled: 1-line block ×3, first 2 shown]
	global_store_b32 v5, v4, s[0:1]
	global_store_b32 v5, v1, s[0:1] offset:1024
.LBB61_64:
	s_nop 0
	s_sendmsg sendmsg(MSG_DEALLOC_VGPRS)
	s_endpgm
	.section	.rodata,"a",@progbits
	.p2align	6, 0x0
	.amdhsa_kernel _Z23fp32_router_gemm_kernelI14__hip_bfloat16Li128ELi30ELi256ELi3072EEvPfPKT_PKf
		.amdhsa_group_segment_fixed_size 480
		.amdhsa_private_segment_fixed_size 116
		.amdhsa_kernarg_size 24
		.amdhsa_user_sgpr_count 15
		.amdhsa_user_sgpr_dispatch_ptr 0
		.amdhsa_user_sgpr_queue_ptr 0
		.amdhsa_user_sgpr_kernarg_segment_ptr 1
		.amdhsa_user_sgpr_dispatch_id 0
		.amdhsa_user_sgpr_private_segment_size 0
		.amdhsa_wavefront_size32 1
		.amdhsa_uses_dynamic_stack 0
		.amdhsa_enable_private_segment 1
		.amdhsa_system_sgpr_workgroup_id_x 1
		.amdhsa_system_sgpr_workgroup_id_y 0
		.amdhsa_system_sgpr_workgroup_id_z 0
		.amdhsa_system_sgpr_workgroup_info 0
		.amdhsa_system_vgpr_workitem_id 0
		.amdhsa_next_free_vgpr 256
		.amdhsa_next_free_sgpr 16
		.amdhsa_reserve_vcc 1
		.amdhsa_float_round_mode_32 0
		.amdhsa_float_round_mode_16_64 0
		.amdhsa_float_denorm_mode_32 3
		.amdhsa_float_denorm_mode_16_64 3
		.amdhsa_dx10_clamp 1
		.amdhsa_ieee_mode 1
		.amdhsa_fp16_overflow 0
		.amdhsa_workgroup_processor_mode 1
		.amdhsa_memory_ordered 1
		.amdhsa_forward_progress 0
		.amdhsa_shared_vgpr_count 0
		.amdhsa_exception_fp_ieee_invalid_op 0
		.amdhsa_exception_fp_denorm_src 0
		.amdhsa_exception_fp_ieee_div_zero 0
		.amdhsa_exception_fp_ieee_overflow 0
		.amdhsa_exception_fp_ieee_underflow 0
		.amdhsa_exception_fp_ieee_inexact 0
		.amdhsa_exception_int_div_zero 0
	.end_amdhsa_kernel
	.section	.text._Z23fp32_router_gemm_kernelI14__hip_bfloat16Li128ELi30ELi256ELi3072EEvPfPKT_PKf,"axG",@progbits,_Z23fp32_router_gemm_kernelI14__hip_bfloat16Li128ELi30ELi256ELi3072EEvPfPKT_PKf,comdat
.Lfunc_end61:
	.size	_Z23fp32_router_gemm_kernelI14__hip_bfloat16Li128ELi30ELi256ELi3072EEvPfPKT_PKf, .Lfunc_end61-_Z23fp32_router_gemm_kernelI14__hip_bfloat16Li128ELi30ELi256ELi3072EEvPfPKT_PKf
                                        ; -- End function
	.section	.AMDGPU.csdata,"",@progbits
; Kernel info:
; codeLenInByte = 8692
; NumSgprs: 18
; NumVgprs: 256
; ScratchSize: 116
; MemoryBound: 0
; FloatMode: 240
; IeeeMode: 1
; LDSByteSize: 480 bytes/workgroup (compile time only)
; SGPRBlocks: 2
; VGPRBlocks: 31
; NumSGPRsForWavesPerEU: 18
; NumVGPRsForWavesPerEU: 256
; Occupancy: 5
; WaveLimiterHint : 1
; COMPUTE_PGM_RSRC2:SCRATCH_EN: 1
; COMPUTE_PGM_RSRC2:USER_SGPR: 15
; COMPUTE_PGM_RSRC2:TRAP_HANDLER: 0
; COMPUTE_PGM_RSRC2:TGID_X_EN: 1
; COMPUTE_PGM_RSRC2:TGID_Y_EN: 0
; COMPUTE_PGM_RSRC2:TGID_Z_EN: 0
; COMPUTE_PGM_RSRC2:TIDIG_COMP_CNT: 0
	.section	.text._Z23fp32_router_gemm_kernelI14__hip_bfloat16Li128ELi31ELi256ELi3072EEvPfPKT_PKf,"axG",@progbits,_Z23fp32_router_gemm_kernelI14__hip_bfloat16Li128ELi31ELi256ELi3072EEvPfPKT_PKf,comdat
	.protected	_Z23fp32_router_gemm_kernelI14__hip_bfloat16Li128ELi31ELi256ELi3072EEvPfPKT_PKf ; -- Begin function _Z23fp32_router_gemm_kernelI14__hip_bfloat16Li128ELi31ELi256ELi3072EEvPfPKT_PKf
	.globl	_Z23fp32_router_gemm_kernelI14__hip_bfloat16Li128ELi31ELi256ELi3072EEvPfPKT_PKf
	.p2align	8
	.type	_Z23fp32_router_gemm_kernelI14__hip_bfloat16Li128ELi31ELi256ELi3072EEvPfPKT_PKf,@function
_Z23fp32_router_gemm_kernelI14__hip_bfloat16Li128ELi31ELi256ELi3072EEvPfPKT_PKf: ; @_Z23fp32_router_gemm_kernelI14__hip_bfloat16Li128ELi31ELi256ELi3072EEvPfPKT_PKf
; %bb.0:
	s_clause 0x1
	s_load_b128 s[4:7], s[0:1], 0x0
	s_load_b64 s[0:1], s[0:1], 0x10
	v_dual_mov_b32 v43, 0 :: v_dual_lshlrev_b32 v44, 3, v0
	s_mul_i32 s8, s15, 0xc00
	v_dual_mov_b32 v42, 0 :: v_dual_mov_b32 v41, 0
	s_ashr_i32 s9, s8, 31
	s_delay_alu instid0(VALU_DEP_2)
	v_or_b32_e32 v45, 0x400, v44
	s_lshl_b64 s[8:9], s[8:9], 2
	v_or_b32_e32 v46, 0x800, v44
	v_dual_mov_b32 v40, 0 :: v_dual_mov_b32 v39, 0
	v_dual_mov_b32 v38, 0 :: v_dual_mov_b32 v37, 0
	;; [unrolled: 1-line block ×14, first 2 shown]
	s_waitcnt lgkmcnt(0)
	s_add_u32 s0, s0, s8
	s_mov_b32 s2, s15
	s_addc_u32 s1, s1, s9
	s_mov_b64 s[8:9], 0
.LBB62_1:                               ; =>This Inner Loop Header: Depth=1
	s_delay_alu instid0(SALU_CYCLE_1)
	s_cmp_eq_u32 s8, 1
	s_cselect_b32 vcc_lo, -1, 0
	s_cmp_eq_u32 s8, 2
	v_cndmask_b32_e32 v1, v44, v45, vcc_lo
	s_cselect_b32 vcc_lo, -1, 0
	s_add_u32 s8, s8, 1
	s_addc_u32 s9, s9, 0
	s_cmp_eq_u32 s8, 3
	v_cndmask_b32_e32 v1, v1, v46, vcc_lo
	s_delay_alu instid0(VALU_DEP_1) | instskip(SKIP_1) | instid1(VALU_DEP_2)
	v_lshlrev_b32_e32 v5, 1, v1
	v_lshlrev_b32_e32 v9, 2, v1
	v_add_co_u32 v47, s3, s6, v5
	s_delay_alu instid0(VALU_DEP_1)
	v_add_co_ci_u32_e64 v48, null, s7, 0, s3
	global_load_b128 v[1:4], v5, s[6:7]
	v_add_co_u32 v49, vcc_lo, 0x1000, v47
	v_add_co_ci_u32_e32 v50, vcc_lo, 0, v48, vcc_lo
	v_add_co_u32 v51, vcc_lo, 0x3000, v47
	v_add_co_ci_u32_e32 v52, vcc_lo, 0, v48, vcc_lo
	;; [unrolled: 2-line block ×19, first 2 shown]
	v_add_co_u32 v123, vcc_lo, 0x1e000, v47
	s_clause 0x1
	global_load_b128 v[5:8], v9, s[0:1]
	global_load_b128 v[9:12], v9, s[0:1] offset:16
	v_add_co_ci_u32_e32 v124, vcc_lo, 0, v48, vcc_lo
	v_add_co_u32 v127, vcc_lo, 0x1f000, v47
	v_add_co_ci_u32_e32 v128, vcc_lo, 0, v48, vcc_lo
	v_add_co_u32 v131, vcc_lo, 0x21000, v47
	;; [unrolled: 2-line block ×10, first 2 shown]
	v_add_co_ci_u32_e32 v164, vcc_lo, 0, v48, vcc_lo
	s_clause 0x1c
	global_load_b128 v[47:50], v[49:50], off offset:2048
	global_load_b128 v[51:54], v[51:52], off
	global_load_b128 v[55:58], v[55:56], off offset:2048
	global_load_b128 v[59:62], v[59:60], off
	;; [unrolled: 2-line block ×14, first 2 shown]
	global_load_b128 v[163:166], v[163:164], off
	s_waitcnt vmcnt(31)
	v_lshlrev_b32_e32 v161, 16, v1
	v_and_b32_e32 v1, 0xffff0000, v1
	s_waitcnt vmcnt(30)
	s_delay_alu instid0(VALU_DEP_2) | instskip(NEXT) | instid1(VALU_DEP_1)
	v_fmac_f32_e32 v43, v5, v161
	v_fmac_f32_e32 v43, v6, v1
	s_waitcnt vmcnt(28)
	v_lshlrev_b32_e32 v1, 16, v47
	s_delay_alu instid0(VALU_DEP_1) | instskip(NEXT) | instid1(VALU_DEP_1)
	v_dual_fmac_f32 v42, v5, v1 :: v_dual_lshlrev_b32 v161, 16, v2
	v_fmac_f32_e32 v43, v7, v161
	s_waitcnt vmcnt(26)
	v_lshlrev_b32_e32 v1, 16, v55
	s_delay_alu instid0(VALU_DEP_1) | instskip(NEXT) | instid1(VALU_DEP_1)
	v_dual_fmac_f32 v40, v5, v1 :: v_dual_lshlrev_b32 v161, 16, v51
	;; [unrolled: 5-line block ×14, first 2 shown]
	v_fmac_f32_e32 v17, v5, v161
	global_load_b128 v[159:162], v[159:160], off offset:2048
	s_waitcnt vmcnt(2)
	v_lshlrev_b32_e32 v1, 16, v155
	s_delay_alu instid0(VALU_DEP_1) | instskip(SKIP_2) | instid1(VALU_DEP_1)
	v_fmac_f32_e32 v15, v5, v1
	s_waitcnt vmcnt(0)
	v_lshlrev_b32_e32 v1, 16, v159
	v_dual_fmac_f32 v14, v5, v1 :: v_dual_lshlrev_b32 v1, 16, v163
	s_delay_alu instid0(VALU_DEP_1) | instskip(SKIP_3) | instid1(VALU_DEP_3)
	v_fmac_f32_e32 v13, v5, v1
	v_and_b32_e32 v1, 0xffff0000, v2
	v_and_b32_e32 v2, 0xffff0000, v3
	v_lshlrev_b32_e32 v5, 16, v49
	v_fmac_f32_e32 v43, v8, v1
	v_and_b32_e32 v1, 0xffff0000, v47
	v_lshlrev_b32_e32 v47, 16, v53
	s_delay_alu instid0(VALU_DEP_2) | instskip(SKIP_1) | instid1(VALU_DEP_2)
	v_dual_fmac_f32 v42, v6, v1 :: v_dual_and_b32 v1, 0xffff0000, v51
	v_lshlrev_b32_e32 v51, 16, v57
	v_fmac_f32_e32 v41, v6, v1
	v_and_b32_e32 v1, 0xffff0000, v55
	v_lshlrev_b32_e32 v55, 16, v61
	s_delay_alu instid0(VALU_DEP_2) | instskip(SKIP_1) | instid1(VALU_DEP_2)
	v_dual_fmac_f32 v40, v6, v1 :: v_dual_and_b32 v1, 0xffff0000, v59
	;; [unrolled: 6-line block ×14, first 2 shown]
	v_lshlrev_b32_e32 v155, 16, v161
	v_fmac_f32_e32 v15, v6, v1
	v_and_b32_e32 v1, 0xffff0000, v159
	v_lshlrev_b32_e32 v159, 16, v165
	s_delay_alu instid0(VALU_DEP_2) | instskip(NEXT) | instid1(VALU_DEP_1)
	v_dual_fmac_f32 v14, v6, v1 :: v_dual_and_b32 v1, 0xffff0000, v163
	v_fmac_f32_e32 v13, v6, v1
	v_lshlrev_b32_e32 v1, 16, v48
	v_and_b32_e32 v6, 0xffff0000, v49
	s_delay_alu instid0(VALU_DEP_2) | instskip(SKIP_1) | instid1(VALU_DEP_1)
	v_dual_fmac_f32 v42, v7, v1 :: v_dual_lshlrev_b32 v49, 16, v54
	v_lshlrev_b32_e32 v1, 16, v52
	v_fmac_f32_e32 v41, v7, v1
	v_lshlrev_b32_e32 v1, 16, v56
	s_delay_alu instid0(VALU_DEP_1) | instskip(NEXT) | instid1(VALU_DEP_1)
	v_dual_fmac_f32 v40, v7, v1 :: v_dual_lshlrev_b32 v1, 16, v60
	v_fmac_f32_e32 v39, v7, v1
	v_lshlrev_b32_e32 v1, 16, v64
	s_delay_alu instid0(VALU_DEP_1) | instskip(NEXT) | instid1(VALU_DEP_1)
	v_dual_fmac_f32 v38, v7, v1 :: v_dual_lshlrev_b32 v1, 16, v68
	;; [unrolled: 4-line block ×14, first 2 shown]
	v_fmac_f32_e32 v13, v7, v1
	v_and_b32_e32 v1, 0xffff0000, v48
	s_delay_alu instid0(VALU_DEP_1) | instskip(NEXT) | instid1(VALU_DEP_1)
	v_dual_fmac_f32 v42, v8, v1 :: v_dual_lshlrev_b32 v7, 16, v50
	v_dual_fmac_f32 v42, v9, v5 :: v_dual_and_b32 v1, 0xffff0000, v52
	s_delay_alu instid0(VALU_DEP_1) | instskip(SKIP_3) | instid1(VALU_DEP_3)
	v_fmac_f32_e32 v41, v8, v1
	v_and_b32_e32 v1, 0xffff0000, v56
	v_and_b32_e32 v52, 0xffff0000, v57
	v_lshlrev_b32_e32 v57, 16, v62
	v_dual_fmac_f32 v41, v9, v47 :: v_dual_fmac_f32 v40, v8, v1
	s_delay_alu instid0(VALU_DEP_1) | instskip(NEXT) | instid1(VALU_DEP_1)
	v_dual_fmac_f32 v40, v9, v51 :: v_dual_and_b32 v1, 0xffff0000, v60
	v_fmac_f32_e32 v39, v8, v1
	v_and_b32_e32 v1, 0xffff0000, v64
	v_and_b32_e32 v56, 0xffff0000, v61
	s_delay_alu instid0(VALU_DEP_4) | instskip(NEXT) | instid1(VALU_DEP_3)
	v_dual_fmac_f32 v40, v10, v52 :: v_dual_lshlrev_b32 v61, 16, v66
	v_dual_fmac_f32 v39, v9, v55 :: v_dual_fmac_f32 v38, v8, v1
	v_and_b32_e32 v1, 0xffff0000, v68
	s_delay_alu instid0(VALU_DEP_2) | instskip(NEXT) | instid1(VALU_DEP_2)
	v_dual_fmac_f32 v39, v10, v56 :: v_dual_fmac_f32 v38, v9, v59
	v_fmac_f32_e32 v37, v8, v1
	v_and_b32_e32 v1, 0xffff0000, v72
	v_and_b32_e32 v60, 0xffff0000, v65
	v_lshlrev_b32_e32 v65, 16, v70
	v_fmac_f32_e32 v39, v11, v57
	s_delay_alu instid0(VALU_DEP_4) | instskip(SKIP_2) | instid1(VALU_DEP_2)
	v_dual_fmac_f32 v37, v9, v63 :: v_dual_fmac_f32 v36, v8, v1
	v_and_b32_e32 v1, 0xffff0000, v76
	v_fmac_f32_e32 v38, v10, v60
	v_dual_fmac_f32 v36, v9, v67 :: v_dual_fmac_f32 v35, v8, v1
	v_and_b32_e32 v1, 0xffff0000, v80
	v_and_b32_e32 v64, 0xffff0000, v69
	s_delay_alu instid0(VALU_DEP_4) | instskip(NEXT) | instid1(VALU_DEP_3)
	v_dual_fmac_f32 v38, v11, v61 :: v_dual_lshlrev_b32 v69, 16, v74
	v_dual_fmac_f32 v35, v9, v71 :: v_dual_fmac_f32 v34, v8, v1
	v_and_b32_e32 v1, 0xffff0000, v84
	s_delay_alu instid0(VALU_DEP_2) | instskip(NEXT) | instid1(VALU_DEP_2)
	v_dual_fmac_f32 v37, v10, v64 :: v_dual_fmac_f32 v34, v9, v75
	v_fmac_f32_e32 v33, v8, v1
	v_and_b32_e32 v1, 0xffff0000, v88
	v_and_b32_e32 v68, 0xffff0000, v73
	v_lshlrev_b32_e32 v73, 16, v78
	v_fmac_f32_e32 v37, v11, v65
	s_delay_alu instid0(VALU_DEP_4) | instskip(SKIP_2) | instid1(VALU_DEP_2)
	v_dual_fmac_f32 v33, v9, v79 :: v_dual_fmac_f32 v32, v8, v1
	v_and_b32_e32 v1, 0xffff0000, v92
	v_fmac_f32_e32 v36, v10, v68
	v_dual_fmac_f32 v32, v9, v83 :: v_dual_fmac_f32 v31, v8, v1
	;; [unrolled: 18-line block ×3, first 2 shown]
	v_and_b32_e32 v1, 0xffff0000, v112
	v_and_b32_e32 v80, 0xffff0000, v85
	s_delay_alu instid0(VALU_DEP_4) | instskip(NEXT) | instid1(VALU_DEP_3)
	v_dual_fmac_f32 v34, v11, v77 :: v_dual_lshlrev_b32 v85, 16, v90
	v_dual_fmac_f32 v27, v9, v103 :: v_dual_fmac_f32 v26, v8, v1
	v_and_b32_e32 v1, 0xffff0000, v116
	s_delay_alu instid0(VALU_DEP_2) | instskip(NEXT) | instid1(VALU_DEP_2)
	v_dual_fmac_f32 v33, v10, v80 :: v_dual_fmac_f32 v26, v9, v107
	v_fmac_f32_e32 v25, v8, v1
	v_and_b32_e32 v1, 0xffff0000, v120
	v_and_b32_e32 v84, 0xffff0000, v89
	v_lshlrev_b32_e32 v89, 16, v94
	s_delay_alu instid0(VALU_DEP_4) | instskip(NEXT) | instid1(VALU_DEP_4)
	v_dual_fmac_f32 v25, v9, v111 :: v_dual_and_b32 v120, 0xffff0000, v125
	v_dual_fmac_f32 v24, v8, v1 :: v_dual_and_b32 v1, 0xffff0000, v124
	v_and_b32_e32 v124, 0xffff0000, v129
	v_lshlrev_b32_e32 v125, 16, v130
	s_delay_alu instid0(VALU_DEP_3) | instskip(NEXT) | instid1(VALU_DEP_4)
	v_dual_fmac_f32 v24, v9, v115 :: v_dual_lshlrev_b32 v129, 16, v134
	v_fmac_f32_e32 v23, v8, v1
	v_and_b32_e32 v1, 0xffff0000, v128
	v_and_b32_e32 v88, 0xffff0000, v93
	v_lshlrev_b32_e32 v93, 16, v98
	s_delay_alu instid0(VALU_DEP_4) | instskip(NEXT) | instid1(VALU_DEP_4)
	v_dual_fmac_f32 v23, v9, v119 :: v_dual_and_b32 v128, 0xffff0000, v133
	v_dual_fmac_f32 v22, v8, v1 :: v_dual_and_b32 v1, 0xffff0000, v132
	s_delay_alu instid0(VALU_DEP_4) | instskip(NEXT) | instid1(VALU_DEP_2)
	v_dual_fmac_f32 v31, v10, v88 :: v_dual_and_b32 v132, 0xffff0000, v137
	v_dual_fmac_f32 v22, v9, v123 :: v_dual_lshlrev_b32 v133, 16, v138
	s_delay_alu instid0(VALU_DEP_3) | instskip(SKIP_3) | instid1(VALU_DEP_4)
	v_fmac_f32_e32 v21, v8, v1
	v_and_b32_e32 v1, 0xffff0000, v136
	v_and_b32_e32 v92, 0xffff0000, v97
	v_lshlrev_b32_e32 v97, 16, v102
	v_dual_fmac_f32 v21, v9, v127 :: v_dual_and_b32 v136, 0xffff0000, v141
	s_delay_alu instid0(VALU_DEP_4) | instskip(SKIP_2) | instid1(VALU_DEP_3)
	v_dual_fmac_f32 v20, v8, v1 :: v_dual_and_b32 v1, 0xffff0000, v140
	v_lshlrev_b32_e32 v137, 16, v142
	v_dual_fmac_f32 v32, v10, v84 :: v_dual_lshlrev_b32 v141, 16, v146
	v_dual_fmac_f32 v20, v9, v131 :: v_dual_fmac_f32 v19, v8, v1
	v_and_b32_e32 v1, 0xffff0000, v144
	v_and_b32_e32 v96, 0xffff0000, v101
	v_dual_fmac_f32 v30, v10, v92 :: v_dual_lshlrev_b32 v101, 16, v106
	s_delay_alu instid0(VALU_DEP_3) | instskip(SKIP_1) | instid1(VALU_DEP_4)
	v_dual_fmac_f32 v19, v9, v135 :: v_dual_fmac_f32 v18, v8, v1
	v_and_b32_e32 v1, 0xffff0000, v148
	v_dual_fmac_f32 v29, v10, v96 :: v_dual_and_b32 v140, 0xffff0000, v145
	s_delay_alu instid0(VALU_DEP_3) | instskip(NEXT) | instid1(VALU_DEP_3)
	v_dual_fmac_f32 v18, v9, v139 :: v_dual_lshlrev_b32 v145, 16, v150
	v_fmac_f32_e32 v17, v8, v1
	v_and_b32_e32 v1, 0xffff0000, v152
	v_and_b32_e32 v100, 0xffff0000, v105
	v_lshlrev_b32_e32 v105, 16, v110
	v_dual_fmac_f32 v23, v10, v120 :: v_dual_and_b32 v152, 0xffff0000, v157
	s_delay_alu instid0(VALU_DEP_4) | instskip(SKIP_2) | instid1(VALU_DEP_3)
	v_dual_fmac_f32 v16, v8, v1 :: v_dual_and_b32 v1, 0xffff0000, v156
	v_dual_fmac_f32 v21, v10, v128 :: v_dual_and_b32 v156, 0xffff0000, v161
	v_fmac_f32_e32 v17, v9, v143
	v_dual_fmac_f32 v16, v9, v147 :: v_dual_fmac_f32 v15, v8, v1
	v_and_b32_e32 v1, 0xffff0000, v160
	v_and_b32_e32 v104, 0xffff0000, v109
	v_lshlrev_b32_e32 v109, 16, v114
	v_dual_fmac_f32 v19, v10, v136 :: v_dual_and_b32 v160, 0xffff0000, v165
	s_delay_alu instid0(VALU_DEP_4) | instskip(SKIP_1) | instid1(VALU_DEP_2)
	v_dual_fmac_f32 v14, v8, v1 :: v_dual_and_b32 v1, 0xffff0000, v164
	v_dual_fmac_f32 v15, v9, v151 :: v_dual_and_b32 v144, 0xffff0000, v149
	v_dual_fmac_f32 v27, v10, v104 :: v_dual_fmac_f32 v14, v9, v155
	s_delay_alu instid0(VALU_DEP_3)
	v_fmac_f32_e32 v13, v8, v1
	v_lshlrev_b32_e32 v1, 16, v3
	v_lshlrev_b32_e32 v3, 16, v4
	v_and_b32_e32 v8, 0xffff0000, v50
	v_and_b32_e32 v48, 0xffff0000, v53
	;; [unrolled: 1-line block ×3, first 2 shown]
	v_lshlrev_b32_e32 v53, 16, v58
	v_and_b32_e32 v54, 0xffff0000, v58
	v_and_b32_e32 v58, 0xffff0000, v62
	;; [unrolled: 1-line block ×14, first 2 shown]
	v_dual_fmac_f32 v13, v9, v159 :: v_dual_and_b32 v108, 0xffff0000, v113
	v_and_b32_e32 v110, 0xffff0000, v114
	v_lshlrev_b32_e32 v113, 16, v118
	v_and_b32_e32 v114, 0xffff0000, v118
	v_dual_fmac_f32 v43, v9, v1 :: v_dual_and_b32 v118, 0xffff0000, v122
	v_and_b32_e32 v4, 0xffff0000, v4
	v_lshlrev_b32_e32 v149, 16, v154
	v_lshlrev_b32_e32 v157, 16, v162
	v_lshlrev_b32_e32 v161, 16, v166
	v_fmac_f32_e32 v43, v10, v2
	v_fmac_f32_e32 v42, v10, v6
	;; [unrolled: 1-line block ×4, first 2 shown]
	s_delay_alu instid0(VALU_DEP_4) | instskip(SKIP_3) | instid1(VALU_DEP_4)
	v_dual_fmac_f32 v22, v10, v124 :: v_dual_fmac_f32 v43, v11, v3
	v_and_b32_e32 v112, 0xffff0000, v117
	v_dual_fmac_f32 v41, v10, v48 :: v_dual_and_b32 v116, 0xffff0000, v121
	v_lshlrev_b32_e32 v117, 16, v122
	v_dual_fmac_f32 v43, v12, v4 :: v_dual_and_b32 v148, 0xffff0000, v153
	s_delay_alu instid0(VALU_DEP_4)
	v_fmac_f32_e32 v25, v10, v112
	v_lshlrev_b32_e32 v121, 16, v126
	v_dual_fmac_f32 v24, v10, v116 :: v_dual_lshlrev_b32 v153, 16, v158
	v_fmac_f32_e32 v20, v10, v132
	v_fmac_f32_e32 v18, v10, v140
	;; [unrolled: 1-line block ×6, first 2 shown]
	v_dual_fmac_f32 v13, v10, v160 :: v_dual_and_b32 v122, 0xffff0000, v126
	v_and_b32_e32 v126, 0xffff0000, v130
	v_and_b32_e32 v130, 0xffff0000, v134
	;; [unrolled: 1-line block ×10, first 2 shown]
	v_fmac_f32_e32 v42, v11, v7
	v_fmac_f32_e32 v41, v11, v49
	;; [unrolled: 1-line block ×23, first 2 shown]
	v_dual_fmac_f32 v13, v11, v161 :: v_dual_fmac_f32 v42, v12, v8
	v_fmac_f32_e32 v41, v12, v50
	v_fmac_f32_e32 v40, v12, v54
	;; [unrolled: 1-line block ×29, first 2 shown]
	s_cbranch_scc0 .LBB62_1
; %bb.2:
	v_mbcnt_lo_u32_b32 v5, -1, 0
	v_lshrrev_b32_e32 v9, 5, v0
	s_delay_alu instid0(VALU_DEP_2) | instskip(SKIP_1) | instid1(VALU_DEP_2)
	v_xor_b32_e32 v1, 16, v5
	v_xor_b32_e32 v2, 8, v5
	v_cmp_gt_i32_e32 vcc_lo, 32, v1
	v_cndmask_b32_e32 v1, v5, v1, vcc_lo
	s_delay_alu instid0(VALU_DEP_3) | instskip(SKIP_1) | instid1(VALU_DEP_1)
	v_cmp_gt_i32_e32 vcc_lo, 32, v2
	v_cndmask_b32_e32 v2, v5, v2, vcc_lo
	v_lshlrev_b32_e32 v2, 2, v2
	s_delay_alu instid0(VALU_DEP_4)
	v_lshlrev_b32_e32 v1, 2, v1
	ds_bpermute_b32 v3, v1, v43
	s_waitcnt lgkmcnt(0)
	v_add_f32_e32 v4, v43, v3
	v_xor_b32_e32 v3, 4, v5
	ds_bpermute_b32 v6, v2, v4
	v_cmp_gt_i32_e32 vcc_lo, 32, v3
	s_waitcnt lgkmcnt(0)
	v_dual_cndmask_b32 v3, v5, v3 :: v_dual_add_f32 v6, v4, v6
	s_delay_alu instid0(VALU_DEP_1)
	v_lshlrev_b32_e32 v3, 2, v3
	v_xor_b32_e32 v4, 2, v5
	ds_bpermute_b32 v7, v3, v6
	v_cmp_gt_i32_e32 vcc_lo, 32, v4
	s_waitcnt lgkmcnt(0)
	v_dual_cndmask_b32 v4, v5, v4 :: v_dual_add_f32 v7, v6, v7
	v_xor_b32_e32 v6, 1, v5
	s_delay_alu instid0(VALU_DEP_1) | instskip(NEXT) | instid1(VALU_DEP_3)
	v_cmp_gt_i32_e32 vcc_lo, 32, v6
	v_dual_cndmask_b32 v5, v5, v6 :: v_dual_lshlrev_b32 v4, 2, v4
	ds_bpermute_b32 v8, v4, v7
	v_lshlrev_b32_e32 v6, 2, v5
	v_and_b32_e32 v5, 31, v0
	s_delay_alu instid0(VALU_DEP_1)
	v_cmp_eq_u32_e32 vcc_lo, 0, v5
	v_lshlrev_b32_e32 v5, 2, v9
	s_waitcnt lgkmcnt(0)
	v_add_f32_e32 v7, v7, v8
	ds_bpermute_b32 v8, v6, v7
	s_and_saveexec_b32 s0, vcc_lo
	s_cbranch_execz .LBB62_4
; %bb.3:
	s_waitcnt lgkmcnt(0)
	v_add_f32_e32 v7, v7, v8
	ds_store_b32 v5, v7
.LBB62_4:
	s_or_b32 exec_lo, exec_lo, s0
	ds_bpermute_b32 v7, v1, v42
	s_waitcnt lgkmcnt(0)
	v_add_f32_e32 v7, v42, v7
	ds_bpermute_b32 v8, v2, v7
	s_waitcnt lgkmcnt(0)
	v_add_f32_e32 v7, v7, v8
	ds_bpermute_b32 v8, v3, v7
	s_waitcnt lgkmcnt(0)
	v_add_f32_e32 v7, v7, v8
	ds_bpermute_b32 v8, v4, v7
	s_waitcnt lgkmcnt(0)
	v_add_f32_e32 v7, v7, v8
	ds_bpermute_b32 v8, v6, v7
	s_and_saveexec_b32 s0, vcc_lo
	s_cbranch_execz .LBB62_6
; %bb.5:
	s_waitcnt lgkmcnt(0)
	v_add_f32_e32 v7, v7, v8
	ds_store_b32 v5, v7 offset:16
.LBB62_6:
	s_or_b32 exec_lo, exec_lo, s0
	ds_bpermute_b32 v7, v1, v41
	s_waitcnt lgkmcnt(0)
	v_add_f32_e32 v7, v41, v7
	ds_bpermute_b32 v8, v2, v7
	s_waitcnt lgkmcnt(0)
	v_add_f32_e32 v7, v7, v8
	ds_bpermute_b32 v8, v3, v7
	s_waitcnt lgkmcnt(0)
	v_add_f32_e32 v7, v7, v8
	ds_bpermute_b32 v8, v4, v7
	s_waitcnt lgkmcnt(0)
	v_add_f32_e32 v7, v7, v8
	ds_bpermute_b32 v8, v6, v7
	s_and_saveexec_b32 s0, vcc_lo
	s_cbranch_execz .LBB62_8
; %bb.7:
	s_waitcnt lgkmcnt(0)
	v_add_f32_e32 v7, v7, v8
	ds_store_b32 v5, v7 offset:32
.LBB62_8:
	;; [unrolled: 21-line block ×30, first 2 shown]
	s_or_b32 exec_lo, exec_lo, s0
	s_waitcnt lgkmcnt(0)
	s_barrier
	buffer_gl0_inv
	s_mov_b32 s0, exec_lo
	v_cmpx_eq_u32_e32 0, v0
	s_cbranch_execz .LBB62_66
; %bb.65:
	v_mov_b32_e32 v40, 0
	s_ashr_i32 s3, s2, 31
	ds_load_b128 v[0:3], v40
	ds_load_b128 v[4:7], v40 offset:16
	ds_load_b128 v[8:11], v40 offset:32
	;; [unrolled: 1-line block ×7, first 2 shown]
	s_lshl_b64 s[0:1], s[2:3], 2
	s_delay_alu instid0(SALU_CYCLE_1)
	s_add_u32 s0, s4, s0
	s_addc_u32 s1, s5, s1
	s_waitcnt lgkmcnt(4)
	v_add_f32_e32 v12, 0, v12
	v_add_f32_e32 v0, 0, v0
	s_waitcnt lgkmcnt(2)
	v_add_f32_e32 v20, 0, v20
	v_add_f32_e32 v4, 0, v4
	;; [unrolled: 3-line block ×3, first 2 shown]
	v_add_f32_e32 v0, v0, v1
	v_add_f32_e32 v1, v4, v5
	ds_load_b128 v[32:35], v40 offset:128
	ds_load_b128 v[36:39], v40 offset:144
	v_dual_add_f32 v5, v12, v13 :: v_dual_add_f32 v8, 0, v8
	s_delay_alu instid0(VALU_DEP_1) | instskip(NEXT) | instid1(VALU_DEP_1)
	v_dual_add_f32 v5, v5, v14 :: v_dual_add_f32 v4, v8, v9
	v_dual_add_f32 v42, v5, v15 :: v_dual_add_f32 v5, v28, v29
	s_waitcnt lgkmcnt(0)
	v_dual_add_f32 v12, v24, v25 :: v_dual_add_f32 v13, 0, v36
	s_delay_alu instid0(VALU_DEP_3) | instskip(NEXT) | instid1(VALU_DEP_1)
	v_add_f32_e32 v4, v4, v10
	v_dual_add_f32 v16, 0, v16 :: v_dual_add_f32 v41, v4, v11
	s_delay_alu instid0(VALU_DEP_1) | instskip(NEXT) | instid1(VALU_DEP_1)
	v_add_f32_e32 v8, v16, v17
	v_add_f32_e32 v8, v8, v18
	s_delay_alu instid0(VALU_DEP_1) | instskip(SKIP_1) | instid1(VALU_DEP_2)
	v_dual_add_f32 v43, v8, v19 :: v_dual_add_f32 v8, v5, v30
	v_dual_add_f32 v6, v1, v6 :: v_dual_add_f32 v9, v20, v21
	v_add_f32_e32 v29, v8, v31
	s_delay_alu instid0(VALU_DEP_2)
	v_add_f32_e32 v25, v6, v7
	v_dual_add_f32 v7, 0, v32 :: v_dual_add_f32 v0, v0, v2
	v_add_f32_e32 v31, v13, v37
	v_add_f32_e32 v4, v9, v22
	;; [unrolled: 1-line block ×3, first 2 shown]
	ds_load_b128 v[8:11], v40 offset:192
	v_add_f32_e32 v24, v0, v3
	ds_load_b128 v[0:3], v40 offset:160
	v_add_f32_e32 v28, v4, v23
	v_dual_add_f32 v27, v6, v27 :: v_dual_add_f32 v12, v7, v33
	ds_load_b128 v[4:7], v40 offset:176
	v_mov_b32_e32 v33, 0x2000
	v_dual_mov_b32 v37, 0x5000 :: v_dual_add_f32 v30, v12, v34
	ds_load_b128 v[12:15], v40 offset:208
	ds_load_b128 v[16:19], v40 offset:224
	;; [unrolled: 1-line block ×3, first 2 shown]
	v_add_f32_e32 v32, v30, v35
	s_waitcnt lgkmcnt(4)
	v_add_f32_e32 v0, 0, v0
	s_waitcnt lgkmcnt(3)
	s_delay_alu instid0(VALU_DEP_1) | instskip(SKIP_1) | instid1(VALU_DEP_2)
	v_dual_add_f32 v0, v0, v1 :: v_dual_add_f32 v1, 0, v4
	v_add_f32_e32 v4, 0, v8
	v_dual_add_f32 v0, v0, v2 :: v_dual_add_f32 v1, v1, v5
	s_delay_alu instid0(VALU_DEP_2) | instskip(SKIP_1) | instid1(VALU_DEP_2)
	v_add_f32_e32 v2, v4, v9
	s_waitcnt lgkmcnt(2)
	v_dual_add_f32 v4, 0, v12 :: v_dual_add_f32 v35, v0, v3
	s_delay_alu instid0(VALU_DEP_3) | instskip(NEXT) | instid1(VALU_DEP_3)
	v_add_f32_e32 v0, v1, v6
	v_add_f32_e32 v1, v2, v10
	s_delay_alu instid0(VALU_DEP_3)
	v_dual_add_f32 v3, v4, v13 :: v_dual_mov_b32 v26, 0x1000
	s_waitcnt lgkmcnt(1)
	v_add_f32_e32 v2, 0, v16
	s_waitcnt lgkmcnt(0)
	v_add_f32_e32 v4, 0, v20
	v_dual_add_f32 v36, v1, v11 :: v_dual_add_f32 v1, v3, v14
	s_clause 0x7
	global_store_b32 v40, v24, s[0:1]
	global_store_b32 v40, v25, s[0:1] offset:1024
	global_store_b32 v40, v41, s[0:1] offset:2048
	;; [unrolled: 1-line block ×3, first 2 shown]
	global_store_b32 v26, v43, s[0:1]
	global_store_b32 v26, v28, s[0:1] offset:1024
	global_store_b32 v26, v27, s[0:1] offset:2048
	;; [unrolled: 1-line block ×3, first 2 shown]
	ds_load_b128 v[24:27], v40 offset:256
	v_add_f32_e32 v28, v31, v38
	v_add_f32_e32 v20, v0, v7
	;; [unrolled: 1-line block ×3, first 2 shown]
	v_dual_add_f32 v2, v4, v21 :: v_dual_mov_b32 v21, 0x3000
	s_delay_alu instid0(VALU_DEP_4) | instskip(SKIP_3) | instid1(VALU_DEP_2)
	v_add_f32_e32 v34, v28, v39
	ds_load_b128 v[28:31], v40 offset:272
	v_add_f32_e32 v4, v0, v18
	v_add_f32_e32 v8, v2, v22
	;; [unrolled: 1-line block ×3, first 2 shown]
	ds_load_b128 v[4:7], v40 offset:304
	v_add_f32_e32 v23, v8, v23
	s_waitcnt lgkmcnt(2)
	v_dual_add_f32 v3, 0, v24 :: v_dual_add_f32 v24, v1, v15
	s_delay_alu instid0(VALU_DEP_1)
	v_add_f32_e32 v9, v3, v25
	ds_load_b128 v[0:3], v40 offset:288
	s_waitcnt lgkmcnt(2)
	v_dual_add_f32 v12, 0, v28 :: v_dual_add_f32 v25, v9, v26
	ds_load_b128 v[8:11], v40 offset:320
	v_add_f32_e32 v26, v12, v29
	ds_load_b128 v[12:15], v40 offset:336
	ds_load_b128 v[16:19], v40 offset:352
	s_waitcnt lgkmcnt(4)
	v_add_f32_e32 v4, 0, v4
	s_delay_alu instid0(VALU_DEP_1) | instskip(NEXT) | instid1(VALU_DEP_1)
	v_add_f32_e32 v4, v4, v5
	v_add_f32_e32 v4, v4, v6
	s_waitcnt lgkmcnt(3)
	v_add_f32_e32 v0, 0, v0
	s_waitcnt lgkmcnt(1)
	s_delay_alu instid0(VALU_DEP_1)
	v_dual_add_f32 v0, v0, v1 :: v_dual_add_f32 v5, 0, v12
	s_clause 0x7
	global_store_b32 v33, v32, s[0:1]
	global_store_b32 v33, v34, s[0:1] offset:1024
	global_store_b32 v33, v35, s[0:1] offset:2048
	;; [unrolled: 1-line block ×3, first 2 shown]
	global_store_b32 v21, v36, s[0:1]
	global_store_b32 v21, v24, s[0:1] offset:1024
	global_store_b32 v21, v22, s[0:1] offset:2048
	;; [unrolled: 1-line block ×3, first 2 shown]
	v_add_f32_e32 v24, v26, v30
	ds_load_b128 v[20:23], v40 offset:368
	v_dual_add_f32 v32, v25, v27 :: v_dual_add_f32 v1, 0, v8
	v_add_f32_e32 v0, v0, v2
	v_add_f32_e32 v34, v24, v31
	ds_load_b128 v[24:27], v40 offset:384
	ds_load_b128 v[28:31], v40 offset:400
	s_waitcnt lgkmcnt(3)
	v_dual_add_f32 v1, v1, v9 :: v_dual_add_f32 v2, 0, v16
	v_add_f32_e32 v5, v5, v13
	v_add_f32_e32 v35, v0, v3
	v_add_f32_e32 v36, v4, v7
	s_delay_alu instid0(VALU_DEP_4) | instskip(NEXT) | instid1(VALU_DEP_4)
	v_dual_add_f32 v0, v1, v10 :: v_dual_add_f32 v1, v2, v17
	v_dual_add_f32 v2, v5, v14 :: v_dual_mov_b32 v33, 0x4000
	s_waitcnt lgkmcnt(2)
	s_delay_alu instid0(VALU_DEP_1) | instskip(NEXT) | instid1(VALU_DEP_3)
	v_dual_add_f32 v38, v2, v15 :: v_dual_add_f32 v3, 0, v20
	v_add_f32_e32 v20, v0, v11
	v_add_f32_e32 v0, v1, v18
	s_waitcnt lgkmcnt(1)
	s_delay_alu instid0(VALU_DEP_3) | instskip(NEXT) | instid1(VALU_DEP_2)
	v_dual_add_f32 v4, v3, v21 :: v_dual_add_f32 v5, 0, v24
	v_add_f32_e32 v21, v0, v19
	ds_load_b128 v[0:3], v40 offset:416
	s_waitcnt lgkmcnt(1)
	v_add_f32_e32 v12, 0, v28
	v_add_f32_e32 v22, v4, v22
	;; [unrolled: 1-line block ×3, first 2 shown]
	ds_load_b128 v[4:7], v40 offset:432
	ds_load_b128 v[8:11], v40 offset:448
	v_add_f32_e32 v25, v12, v29
	ds_load_b128 v[12:15], v40 offset:464
	ds_load_b128 v[16:19], v40 offset:480
	v_dual_add_f32 v22, v22, v23 :: v_dual_add_f32 v23, v24, v26
	s_clause 0x7
	global_store_b32 v33, v32, s[0:1]
	global_store_b32 v33, v34, s[0:1] offset:1024
	global_store_b32 v33, v35, s[0:1] offset:2048
	;; [unrolled: 1-line block ×3, first 2 shown]
	global_store_b32 v37, v20, s[0:1]
	global_store_b32 v37, v38, s[0:1] offset:1024
	global_store_b32 v37, v21, s[0:1] offset:2048
	;; [unrolled: 1-line block ×3, first 2 shown]
	v_dual_add_f32 v24, v25, v30 :: v_dual_mov_b32 v21, 0x6000
	v_add_f32_e32 v20, v23, v27
	s_delay_alu instid0(VALU_DEP_2)
	v_add_f32_e32 v22, v24, v31
	s_waitcnt lgkmcnt(4)
	v_add_f32_e32 v0, 0, v0
	s_waitcnt lgkmcnt(3)
	;; [unrolled: 2-line block ×4, first 2 shown]
	v_dual_add_f32 v0, v0, v1 :: v_dual_add_f32 v1, 0, v12
	s_waitcnt lgkmcnt(0)
	v_add_f32_e32 v12, 0, v16
	v_add_f32_e32 v4, v4, v5
	;; [unrolled: 1-line block ×3, first 2 shown]
	v_dual_add_f32 v0, v0, v2 :: v_dual_add_f32 v1, v1, v13
	s_delay_alu instid0(VALU_DEP_4) | instskip(NEXT) | instid1(VALU_DEP_4)
	v_add_f32_e32 v2, v12, v17
	v_add_f32_e32 v4, v4, v6
	s_delay_alu instid0(VALU_DEP_3) | instskip(NEXT) | instid1(VALU_DEP_4)
	v_dual_add_f32 v5, v5, v10 :: v_dual_add_f32 v0, v0, v3
	v_add_f32_e32 v1, v1, v14
	s_delay_alu instid0(VALU_DEP_3) | instskip(NEXT) | instid1(VALU_DEP_3)
	v_dual_add_f32 v2, v2, v18 :: v_dual_add_f32 v3, v4, v7
	v_dual_add_f32 v4, v5, v11 :: v_dual_mov_b32 v5, 0x7000
	s_delay_alu instid0(VALU_DEP_3) | instskip(NEXT) | instid1(VALU_DEP_3)
	v_add_f32_e32 v1, v1, v15
	v_add_f32_e32 v2, v2, v19
	s_clause 0x6
	global_store_b32 v21, v20, s[0:1]
	global_store_b32 v21, v22, s[0:1] offset:1024
	global_store_b32 v21, v0, s[0:1] offset:2048
	global_store_b32 v21, v3, s[0:1] offset:3072
	global_store_b32 v5, v4, s[0:1]
	global_store_b32 v5, v1, s[0:1] offset:1024
	global_store_b32 v5, v2, s[0:1] offset:2048
.LBB62_66:
	s_nop 0
	s_sendmsg sendmsg(MSG_DEALLOC_VGPRS)
	s_endpgm
	.section	.rodata,"a",@progbits
	.p2align	6, 0x0
	.amdhsa_kernel _Z23fp32_router_gemm_kernelI14__hip_bfloat16Li128ELi31ELi256ELi3072EEvPfPKT_PKf
		.amdhsa_group_segment_fixed_size 496
		.amdhsa_private_segment_fixed_size 0
		.amdhsa_kernarg_size 24
		.amdhsa_user_sgpr_count 15
		.amdhsa_user_sgpr_dispatch_ptr 0
		.amdhsa_user_sgpr_queue_ptr 0
		.amdhsa_user_sgpr_kernarg_segment_ptr 1
		.amdhsa_user_sgpr_dispatch_id 0
		.amdhsa_user_sgpr_private_segment_size 0
		.amdhsa_wavefront_size32 1
		.amdhsa_uses_dynamic_stack 0
		.amdhsa_enable_private_segment 0
		.amdhsa_system_sgpr_workgroup_id_x 1
		.amdhsa_system_sgpr_workgroup_id_y 0
		.amdhsa_system_sgpr_workgroup_id_z 0
		.amdhsa_system_sgpr_workgroup_info 0
		.amdhsa_system_vgpr_workitem_id 0
		.amdhsa_next_free_vgpr 167
		.amdhsa_next_free_sgpr 16
		.amdhsa_reserve_vcc 1
		.amdhsa_float_round_mode_32 0
		.amdhsa_float_round_mode_16_64 0
		.amdhsa_float_denorm_mode_32 3
		.amdhsa_float_denorm_mode_16_64 3
		.amdhsa_dx10_clamp 1
		.amdhsa_ieee_mode 1
		.amdhsa_fp16_overflow 0
		.amdhsa_workgroup_processor_mode 1
		.amdhsa_memory_ordered 1
		.amdhsa_forward_progress 0
		.amdhsa_shared_vgpr_count 0
		.amdhsa_exception_fp_ieee_invalid_op 0
		.amdhsa_exception_fp_denorm_src 0
		.amdhsa_exception_fp_ieee_div_zero 0
		.amdhsa_exception_fp_ieee_overflow 0
		.amdhsa_exception_fp_ieee_underflow 0
		.amdhsa_exception_fp_ieee_inexact 0
		.amdhsa_exception_int_div_zero 0
	.end_amdhsa_kernel
	.section	.text._Z23fp32_router_gemm_kernelI14__hip_bfloat16Li128ELi31ELi256ELi3072EEvPfPKT_PKf,"axG",@progbits,_Z23fp32_router_gemm_kernelI14__hip_bfloat16Li128ELi31ELi256ELi3072EEvPfPKT_PKf,comdat
.Lfunc_end62:
	.size	_Z23fp32_router_gemm_kernelI14__hip_bfloat16Li128ELi31ELi256ELi3072EEvPfPKT_PKf, .Lfunc_end62-_Z23fp32_router_gemm_kernelI14__hip_bfloat16Li128ELi31ELi256ELi3072EEvPfPKT_PKf
                                        ; -- End function
	.section	.AMDGPU.csdata,"",@progbits
; Kernel info:
; codeLenInByte = 8412
; NumSgprs: 18
; NumVgprs: 167
; ScratchSize: 0
; MemoryBound: 0
; FloatMode: 240
; IeeeMode: 1
; LDSByteSize: 496 bytes/workgroup (compile time only)
; SGPRBlocks: 2
; VGPRBlocks: 20
; NumSGPRsForWavesPerEU: 18
; NumVGPRsForWavesPerEU: 167
; Occupancy: 9
; WaveLimiterHint : 1
; COMPUTE_PGM_RSRC2:SCRATCH_EN: 0
; COMPUTE_PGM_RSRC2:USER_SGPR: 15
; COMPUTE_PGM_RSRC2:TRAP_HANDLER: 0
; COMPUTE_PGM_RSRC2:TGID_X_EN: 1
; COMPUTE_PGM_RSRC2:TGID_Y_EN: 0
; COMPUTE_PGM_RSRC2:TGID_Z_EN: 0
; COMPUTE_PGM_RSRC2:TIDIG_COMP_CNT: 0
	.section	.text._Z23fp32_router_gemm_kernelI14__hip_bfloat16Li128ELi32ELi256ELi3072EEvPfPKT_PKf,"axG",@progbits,_Z23fp32_router_gemm_kernelI14__hip_bfloat16Li128ELi32ELi256ELi3072EEvPfPKT_PKf,comdat
	.protected	_Z23fp32_router_gemm_kernelI14__hip_bfloat16Li128ELi32ELi256ELi3072EEvPfPKT_PKf ; -- Begin function _Z23fp32_router_gemm_kernelI14__hip_bfloat16Li128ELi32ELi256ELi3072EEvPfPKT_PKf
	.globl	_Z23fp32_router_gemm_kernelI14__hip_bfloat16Li128ELi32ELi256ELi3072EEvPfPKT_PKf
	.p2align	8
	.type	_Z23fp32_router_gemm_kernelI14__hip_bfloat16Li128ELi32ELi256ELi3072EEvPfPKT_PKf,@function
_Z23fp32_router_gemm_kernelI14__hip_bfloat16Li128ELi32ELi256ELi3072EEvPfPKT_PKf: ; @_Z23fp32_router_gemm_kernelI14__hip_bfloat16Li128ELi32ELi256ELi3072EEvPfPKT_PKf
; %bb.0:
	scratch_store_b32 off, v0, off offset:176 ; 4-byte Folded Spill
	s_clause 0x1
	s_load_b128 s[4:7], s[0:1], 0x0
	s_load_b64 s[0:1], s[0:1], 0x10
	v_dual_mov_b32 v33, 0 :: v_dual_lshlrev_b32 v0, 3, v0
	s_mul_i32 s8, s15, 0xc00
	v_dual_mov_b32 v34, 0 :: v_dual_mov_b32 v31, 0
	s_delay_alu instid0(VALU_DEP_2)
	v_or_b32_e32 v1, 0x400, v0
	s_ashr_i32 s9, s8, 31
	v_dual_mov_b32 v32, 0 :: v_dual_mov_b32 v29, 0
	s_lshl_b64 s[8:9], s[8:9], 2
	s_clause 0x1
	scratch_store_b32 off, v1, off offset:168
	scratch_store_b32 off, v0, off offset:164
	v_or_b32_e32 v0, 0x800, v0
	v_dual_mov_b32 v30, 0 :: v_dual_mov_b32 v27, 0
	v_dual_mov_b32 v28, 0 :: v_dual_mov_b32 v25, 0
	;; [unrolled: 1-line block ×13, first 2 shown]
	v_mov_b32_e32 v4, 0
	s_waitcnt lgkmcnt(0)
	s_add_u32 s0, s0, s8
	s_mov_b32 s2, s15
	s_addc_u32 s1, s1, s9
	s_mov_b64 s[8:9], 0
	scratch_store_b32 off, v0, off offset:172 ; 4-byte Folded Spill
.LBB63_1:                               ; =>This Inner Loop Header: Depth=1
	s_clause 0x1
	scratch_load_b32 v0, off, off offset:164
	scratch_load_b32 v1, off, off offset:168
	s_cmp_eq_u32 s8, 1
	s_cselect_b32 vcc_lo, -1, 0
	s_cmp_eq_u32 s8, 2
	s_waitcnt vmcnt(0)
	v_cndmask_b32_e32 v1, v0, v1, vcc_lo
	scratch_load_b32 v0, off, off offset:172 ; 4-byte Folded Reload
	s_cselect_b32 vcc_lo, -1, 0
	s_add_u32 s8, s8, 1
	s_addc_u32 s9, s9, 0
	s_cmp_eq_u32 s8, 3
	s_waitcnt vmcnt(0)
	v_cndmask_b32_e32 v0, v1, v0, vcc_lo
	s_delay_alu instid0(VALU_DEP_1) | instskip(NEXT) | instid1(VALU_DEP_1)
	v_lshlrev_b32_e32 v1, 1, v0
	v_add_co_u32 v39, s3, s6, v1
	s_delay_alu instid0(VALU_DEP_1)
	v_add_co_ci_u32_e64 v40, null, s7, 0, s3
	global_load_b128 v[43:46], v1, s[6:7]
	v_add_co_u32 v41, vcc_lo, 0x1000, v39
	v_add_co_ci_u32_e32 v42, vcc_lo, 0, v40, vcc_lo
	v_add_co_u32 v47, vcc_lo, 0x3000, v39
	v_add_co_ci_u32_e32 v48, vcc_lo, 0, v40, vcc_lo
	;; [unrolled: 2-line block ×17, first 2 shown]
	s_clause 0x10
	global_load_b128 v[49:52], v[41:42], off offset:2048
	global_load_b128 v[53:56], v[47:48], off
	global_load_b128 v[57:60], v[57:58], off offset:2048
	global_load_b128 v[61:64], v[61:62], off
	;; [unrolled: 2-line block ×8, first 2 shown]
	global_load_b128 v[113:116], v[113:114], off offset:2048
	v_add_co_u32 v1, vcc_lo, 0x1b000, v39
	v_add_co_ci_u32_e32 v2, vcc_lo, 0, v40, vcc_lo
	s_waitcnt vmcnt(17)
	v_lshlrev_b32_e32 v35, 16, v43
	v_lshlrev_b32_e32 v167, 16, v45
	scratch_store_b32 off, v35, off         ; 4-byte Folded Spill
	v_and_b32_e32 v35, 0xffff0000, v43
	scratch_store_b32 off, v35, off offset:4 ; 4-byte Folded Spill
	s_waitcnt vmcnt(16)
	v_lshlrev_b32_e32 v141, 16, v50
	s_waitcnt vmcnt(15)
	v_and_b32_e32 v159, 0xffff0000, v54
	s_waitcnt vmcnt(14)
	v_and_b32_e32 v139, 0xffff0000, v57
	s_waitcnt vmcnt(13)
	v_and_b32_e32 v161, 0xffff0000, v62
	v_and_b32_e32 v160, 0xffff0000, v58
	s_waitcnt vmcnt(11)
	v_and_b32_e32 v118, 0xffff0000, v69
	v_lshlrev_b32_e32 v125, 16, v69
	s_waitcnt vmcnt(9)
	v_lshlrev_b32_e32 v127, 16, v77
	v_and_b32_e32 v165, 0xffff0000, v70
	s_waitcnt vmcnt(7)
	v_lshlrev_b32_e32 v129, 16, v85
	v_lshlrev_b32_e32 v170, 16, v71
	;; [unrolled: 1-line block ×4, first 2 shown]
	s_waitcnt vmcnt(5)
	v_lshlrev_b32_e32 v185, 16, v95
	s_waitcnt vmcnt(3)
	v_lshlrev_b32_e32 v189, 16, v103
	;; [unrolled: 2-line block ×3, first 2 shown]
	v_lshlrev_b32_e32 v123, 16, v61
	v_lshlrev_b32_e32 v35, 16, v44
	v_and_b32_e32 v192, 0xffff0000, v71
	v_lshlrev_b32_e32 v193, 16, v111
	v_and_b32_e32 v178, 0xffff0000, v95
	v_and_b32_e32 v173, 0xffff0000, v103
	scratch_store_b32 off, v35, off offset:8 ; 4-byte Folded Spill
	v_and_b32_e32 v35, 0xffff0000, v44
	v_and_b32_e32 v188, 0xffff0000, v79
	v_and_b32_e32 v111, 0xffff0000, v111
	v_lshlrev_b32_e32 v122, 16, v57
	v_and_b32_e32 v138, 0xffff0000, v53
	scratch_store_b32 off, v35, off offset:28 ; 4-byte Folded Spill
	v_and_b32_e32 v35, 0xffff0000, v45
	v_lshlrev_b32_e32 v131, 16, v93
	v_lshlrev_b32_e32 v121, 16, v53
	;; [unrolled: 1-line block ×4, first 2 shown]
	scratch_store_b32 off, v35, off offset:60 ; 4-byte Folded Spill
	v_lshlrev_b32_e32 v35, 16, v46
	v_lshlrev_b32_e32 v176, 16, v55
	;; [unrolled: 1-line block ×4, first 2 shown]
	v_and_b32_e32 v168, 0xffff0000, v106
	scratch_store_b32 off, v35, off offset:52 ; 4-byte Folded Spill
	v_and_b32_e32 v35, 0xffff0000, v46
	v_lshlrev_b32_e32 v212, 16, v104
	v_lshlrev_b32_e32 v194, 16, v112
	v_lshlrev_b32_e32 v187, 16, v99
	v_and_b32_e32 v166, 0xffff0000, v82
	scratch_store_b32 off, v35, off offset:12 ; 4-byte Folded Spill
	v_and_b32_e32 v35, 0xffff0000, v51
	v_and_b32_e32 v184, 0xffff0000, v87
	;; [unrolled: 1-line block ×4, first 2 shown]
	v_lshlrev_b32_e32 v126, 16, v73
	scratch_store_b32 off, v35, off offset:136 ; 4-byte Folded Spill
	v_lshlrev_b32_e32 v35, 16, v52
	v_and_b32_e32 v186, 0xffff0000, v83
	v_and_b32_e32 v182, 0xffff0000, v91
	v_lshlrev_b32_e32 v120, 16, v49
	v_lshlrev_b32_e32 v124, 16, v65
	scratch_store_b32 off, v35, off offset:68 ; 4-byte Folded Spill
	v_and_b32_e32 v35, 0xffff0000, v52
	scratch_store_b32 off, v35, off offset:16 ; 4-byte Folded Spill
	v_and_b32_e32 v35, 0xffff0000, v55
	scratch_store_b32 off, v35, off offset:144 ; 4-byte Folded Spill
	v_lshlrev_b32_e32 v35, 16, v56
	scratch_store_b32 off, v35, off offset:76 ; 4-byte Folded Spill
	v_and_b32_e32 v35, 0xffff0000, v56
	v_add_co_u32 v56, vcc_lo, 0x1c000, v39
	v_add_co_ci_u32_e32 v57, vcc_lo, 0, v40, vcc_lo
	scratch_store_b32 off, v35, off offset:20 ; 4-byte Folded Spill
	v_and_b32_e32 v35, 0xffff0000, v59
	scratch_store_b32 off, v35, off offset:152 ; 4-byte Folded Spill
	v_lshlrev_b32_e32 v35, 16, v60
	scratch_store_b32 off, v35, off offset:84 ; 4-byte Folded Spill
	v_and_b32_e32 v35, 0xffff0000, v60
	scratch_store_b32 off, v35, off offset:24 ; 4-byte Folded Spill
	v_and_b32_e32 v35, 0xffff0000, v63
	scratch_store_b32 off, v35, off offset:160 ; 4-byte Folded Spill
	v_lshlrev_b32_e32 v35, 16, v64
	scratch_store_b32 off, v35, off offset:92 ; 4-byte Folded Spill
	v_and_b32_e32 v35, 0xffff0000, v64
	scratch_store_b32 off, v35, off offset:32 ; 4-byte Folded Spill
	v_lshlrev_b32_e32 v35, 16, v68
	scratch_store_b32 off, v35, off offset:100 ; 4-byte Folded Spill
	v_and_b32_e32 v35, 0xffff0000, v68
	scratch_store_b32 off, v35, off offset:36 ; 4-byte Folded Spill
	v_lshlrev_b32_e32 v35, 16, v72
	scratch_store_b32 off, v35, off offset:108 ; 4-byte Folded Spill
	v_and_b32_e32 v35, 0xffff0000, v72
	scratch_store_b32 off, v35, off offset:40 ; 4-byte Folded Spill
	v_lshlrev_b32_e32 v35, 16, v76
	scratch_store_b32 off, v35, off offset:116 ; 4-byte Folded Spill
	v_and_b32_e32 v35, 0xffff0000, v76
	scratch_store_b32 off, v35, off offset:44 ; 4-byte Folded Spill
	v_lshlrev_b32_e32 v35, 16, v80
	scratch_store_b32 off, v35, off offset:124 ; 4-byte Folded Spill
	v_and_b32_e32 v35, 0xffff0000, v80
	scratch_store_b32 off, v35, off offset:48 ; 4-byte Folded Spill
	v_lshlrev_b32_e32 v35, 16, v84
	scratch_store_b32 off, v35, off offset:128 ; 4-byte Folded Spill
	v_and_b32_e32 v35, 0xffff0000, v84
	scratch_store_b32 off, v35, off offset:56 ; 4-byte Folded Spill
	v_lshlrev_b32_e32 v35, 16, v88
	scratch_store_b32 off, v35, off offset:132 ; 4-byte Folded Spill
	v_and_b32_e32 v35, 0xffff0000, v88
	scratch_store_b32 off, v35, off offset:64 ; 4-byte Folded Spill
	v_lshlrev_b32_e32 v35, 16, v92
	scratch_store_b32 off, v35, off offset:140 ; 4-byte Folded Spill
	v_and_b32_e32 v35, 0xffff0000, v92
	scratch_store_b32 off, v35, off offset:72 ; 4-byte Folded Spill
	v_lshlrev_b32_e32 v35, 16, v96
	scratch_store_b32 off, v35, off offset:148 ; 4-byte Folded Spill
	v_and_b32_e32 v35, 0xffff0000, v96
	scratch_store_b32 off, v35, off offset:80 ; 4-byte Folded Spill
	v_lshlrev_b32_e32 v35, 16, v100
	scratch_store_b32 off, v35, off offset:156 ; 4-byte Folded Spill
	v_and_b32_e32 v35, 0xffff0000, v100
	scratch_store_b32 off, v35, off offset:88 ; 4-byte Folded Spill
	v_and_b32_e32 v35, 0xffff0000, v104
	v_lshlrev_b32_e32 v104, 16, v108
	scratch_store_b32 off, v35, off offset:96 ; 4-byte Folded Spill
	v_and_b32_e32 v35, 0xffff0000, v108
	scratch_store_b32 off, v35, off offset:104 ; 4-byte Folded Spill
	v_and_b32_e32 v35, 0xffff0000, v112
	scratch_store_b32 off, v35, off offset:112 ; 4-byte Folded Spill
	s_waitcnt vmcnt(0)
	v_and_b32_e32 v35, 0xffff0000, v116
	scratch_store_b32 off, v35, off offset:120 ; 4-byte Folded Spill
	s_clause 0x1
	global_load_b128 v[52:55], v[1:2], off
	global_load_b128 v[56:59], v[56:57], off offset:2048
	v_add_co_u32 v1, vcc_lo, 0x1e000, v39
	v_add_co_ci_u32_e32 v2, vcc_lo, 0, v40, vcc_lo
	s_waitcnt vmcnt(1)
	v_lshlrev_b32_e32 v197, 16, v52
	s_waitcnt vmcnt(0)
	v_lshlrev_b32_e32 v205, 16, v56
	v_and_b32_e32 v206, 0xffff0000, v56
	v_add_co_u32 v56, vcc_lo, 0x1f000, v39
	v_lshlrev_b32_e32 v207, 16, v57
	v_and_b32_e32 v208, 0xffff0000, v57
	v_add_co_ci_u32_e32 v57, vcc_lo, 0, v40, vcc_lo
	v_and_b32_e32 v198, 0xffff0000, v52
	v_lshlrev_b32_e32 v199, 16, v53
	v_and_b32_e32 v163, 0xffff0000, v74
	v_and_b32_e32 v200, 0xffff0000, v53
	v_lshlrev_b32_e32 v201, 16, v54
	v_and_b32_e32 v202, 0xffff0000, v54
	v_lshlrev_b32_e32 v203, 16, v55
	;; [unrolled: 2-line block ×4, first 2 shown]
	v_and_b32_e32 v108, 0xffff0000, v59
	s_clause 0x1
	global_load_b128 v[52:55], v[1:2], off
	global_load_b128 v[56:59], v[56:57], off offset:2048
	v_add_co_u32 v1, vcc_lo, 0x21000, v39
	v_add_co_ci_u32_e32 v2, vcc_lo, 0, v40, vcc_lo
	v_lshlrev_b32_e32 v180, 16, v51
	v_and_b32_e32 v137, 0xffff0000, v49
	v_lshlrev_b32_e32 v154, 16, v102
	v_lshlrev_b32_e32 v144, 16, v62
	s_waitcnt vmcnt(1)
	v_lshlrev_b32_e32 v219, 16, v55
	s_waitcnt vmcnt(0)
	v_lshlrev_b32_e32 v221, 16, v56
	v_and_b32_e32 v222, 0xffff0000, v56
	v_add_co_u32 v56, vcc_lo, 0x22000, v39
	v_lshlrev_b32_e32 v223, 16, v57
	v_and_b32_e32 v224, 0xffff0000, v57
	v_add_co_ci_u32_e32 v57, vcc_lo, 0, v40, vcc_lo
	v_lshlrev_b32_e32 v213, 16, v52
	v_and_b32_e32 v214, 0xffff0000, v52
	v_lshlrev_b32_e32 v215, 16, v53
	v_and_b32_e32 v216, 0xffff0000, v53
	v_lshlrev_b32_e32 v217, 16, v54
	v_and_b32_e32 v218, 0xffff0000, v54
	v_and_b32_e32 v220, 0xffff0000, v55
	v_lshlrev_b32_e32 v225, 16, v58
	v_and_b32_e32 v226, 0xffff0000, v58
	v_lshlrev_b32_e32 v227, 16, v59
	v_and_b32_e32 v228, 0xffff0000, v59
	s_clause 0x1
	global_load_b128 v[52:55], v[1:2], off
	global_load_b128 v[56:59], v[56:57], off offset:2048
	v_add_co_u32 v1, vcc_lo, 0x24000, v39
	v_add_co_ci_u32_e32 v2, vcc_lo, 0, v40, vcc_lo
	v_and_b32_e32 v169, 0xffff0000, v102
	v_lshlrev_b32_e32 v171, 16, v67
	v_lshlrev_b32_e32 v179, 16, v83
	;; [unrolled: 1-line block ×5, first 2 shown]
	s_waitcnt vmcnt(1)
	v_lshlrev_b32_e32 v229, 16, v52
	s_waitcnt vmcnt(0)
	v_lshlrev_b32_e32 v237, 16, v56
	v_and_b32_e32 v238, 0xffff0000, v56
	v_add_co_u32 v56, vcc_lo, 0x25000, v39
	v_lshlrev_b32_e32 v239, 16, v57
	v_and_b32_e32 v240, 0xffff0000, v57
	v_add_co_ci_u32_e32 v57, vcc_lo, 0, v40, vcc_lo
	v_and_b32_e32 v230, 0xffff0000, v52
	v_lshlrev_b32_e32 v231, 16, v53
	v_and_b32_e32 v232, 0xffff0000, v53
	v_lshlrev_b32_e32 v233, 16, v54
	;; [unrolled: 2-line block ×5, first 2 shown]
	v_and_b32_e32 v244, 0xffff0000, v59
	s_clause 0x1
	global_load_b128 v[52:55], v[1:2], off
	global_load_b128 v[56:59], v[56:57], off offset:2048
	v_add_co_u32 v1, vcc_lo, 0x27000, v39
	v_add_co_ci_u32_e32 v2, vcc_lo, 0, v40, vcc_lo
	v_lshlrev_b32_e32 v147, 16, v74
	v_and_b32_e32 v117, 0xffff0000, v65
	s_waitcnt vmcnt(1)
	v_and_b32_e32 v246, 0xffff0000, v52
	v_and_b32_e32 v119, 0xffff0000, v73
	;; [unrolled: 1-line block ×4, first 2 shown]
	s_waitcnt vmcnt(0)
	v_lshlrev_b32_e32 v253, 16, v56
	v_and_b32_e32 v254, 0xffff0000, v56
	v_add_co_u32 v56, vcc_lo, 0x28000, v39
	v_lshlrev_b32_e32 v255, 16, v57
	v_and_b32_e32 v70, 0xffff0000, v57
	v_add_co_ci_u32_e32 v57, vcc_lo, 0, v40, vcc_lo
	v_lshlrev_b32_e32 v245, 16, v52
	v_lshlrev_b32_e32 v247, 16, v53
	;; [unrolled: 1-line block ×3, first 2 shown]
	v_and_b32_e32 v250, 0xffff0000, v54
	v_lshlrev_b32_e32 v251, 16, v55
	v_and_b32_e32 v252, 0xffff0000, v55
	v_lshlrev_b32_e32 v76, 16, v58
	v_and_b32_e32 v248, 0xffff0000, v53
	v_and_b32_e32 v87, 0xffff0000, v58
	v_lshlrev_b32_e32 v99, 16, v59
	v_and_b32_e32 v103, 0xffff0000, v59
	s_clause 0x1
	global_load_b128 v[52:55], v[1:2], off
	global_load_b128 v[56:59], v[56:57], off offset:2048
	v_add_co_u32 v1, vcc_lo, 0x2a000, v39
	v_add_co_ci_u32_e32 v2, vcc_lo, 0, v40, vcc_lo
	v_lshlrev_b32_e32 v149, 16, v82
	v_and_b32_e32 v204, 0xffff0000, v67
	v_lshlrev_b32_e32 v183, 16, v91
	v_lshlrev_b32_e32 v172, 16, v63
	s_waitcnt vmcnt(1)
	v_lshlrev_b32_e32 v38, 16, v52
	s_waitcnt vmcnt(0)
	v_lshlrev_b32_e32 v37, 16, v56
	v_and_b32_e32 v43, 0xffff0000, v56
	v_add_co_u32 v56, vcc_lo, 0x2b000, v39
	v_lshlrev_b32_e32 v47, 16, v57
	v_and_b32_e32 v66, 0xffff0000, v57
	v_add_co_ci_u32_e32 v57, vcc_lo, 0, v40, vcc_lo
	v_and_b32_e32 v44, 0xffff0000, v52
	v_lshlrev_b32_e32 v48, 16, v53
	v_and_b32_e32 v67, 0xffff0000, v53
	v_lshlrev_b32_e32 v73, 16, v54
	;; [unrolled: 2-line block ×5, first 2 shown]
	v_and_b32_e32 v100, 0xffff0000, v59
	s_clause 0x1
	global_load_b128 v[52:55], v[1:2], off
	global_load_b128 v[56:59], v[56:57], off offset:2048
	v_add_co_u32 v1, vcc_lo, 0x2d000, v39
	v_add_co_ci_u32_e32 v2, vcc_lo, 0, v40, vcc_lo
	v_add_co_u32 v39, vcc_lo, 0x2e000, v39
	v_add_co_ci_u32_e32 v40, vcc_lo, 0, v40, vcc_lo
	s_waitcnt vmcnt(1)
	v_lshlrev_b32_e32 v36, 16, v52
	v_and_b32_e32 v42, 0xffff0000, v52
	v_lshlrev_b32_e32 v46, 16, v53
	v_and_b32_e32 v51, 0xffff0000, v53
	v_lshlrev_b32_e32 v69, 16, v54
	v_lshlrev_b32_e32 v84, 16, v55
	s_waitcnt vmcnt(0)
	v_lshlrev_b32_e32 v35, 16, v56
	v_and_b32_e32 v41, 0xffff0000, v56
	v_lshlrev_b32_e32 v45, 16, v57
	v_lshlrev_b32_e32 v106, 16, v75
	v_and_b32_e32 v75, 0xffff0000, v54
	v_and_b32_e32 v50, 0xffff0000, v57
	v_lshlrev_b32_e32 v68, 16, v58
	v_and_b32_e32 v74, 0xffff0000, v58
	v_and_b32_e32 v96, 0xffff0000, v55
	v_lshlrev_b32_e32 v83, 16, v59
	v_and_b32_e32 v95, 0xffff0000, v59
	s_clause 0x1
	global_load_b128 v[52:55], v[1:2], off
	global_load_b128 v[56:59], v[39:40], off offset:2048
	s_waitcnt vmcnt(1)
	v_lshlrev_b32_e32 v1, 16, v52
	v_and_b32_e32 v2, 0xffff0000, v52
	v_lshlrev_b32_e32 v40, 16, v53
	v_and_b32_e32 v49, 0xffff0000, v53
	;; [unrolled: 2-line block ×4, first 2 shown]
	s_waitcnt vmcnt(0)
	v_lshlrev_b32_e32 v0, 16, v56
	v_and_b32_e32 v140, 0xffff0000, v61
	s_clause 0x1
	global_load_b128 v[52:55], v60, s[0:1] offset:16
	global_load_b128 v[60:63], v60, s[0:1]
	v_lshlrev_b32_e32 v151, 16, v90
	v_lshlrev_b32_e32 v152, 16, v94
	;; [unrolled: 1-line block ×6, first 2 shown]
	v_and_b32_e32 v56, 0xffff0000, v56
	v_lshlrev_b32_e32 v39, 16, v57
	v_and_b32_e32 v57, 0xffff0000, v57
	v_lshlrev_b32_e32 v64, 16, v58
	v_lshlrev_b32_e32 v134, 16, v105
	s_waitcnt vmcnt(0)
	s_delay_alu instid0(VALU_DEP_1) | instskip(SKIP_3) | instid1(VALU_DEP_3)
	v_dual_fmac_f32 v19, v60, v134 :: v_dual_lshlrev_b32 v132, 16, v97
	v_fmac_f32_e32 v4, v60, v1
	v_and_b32_e32 v85, 0xffff0000, v85
	v_dual_fmac_f32 v7, v60, v37 :: v_dual_and_b32 v90, 0xffff0000, v90
	v_dual_fmac_f32 v3, v60, v0 :: v_dual_fmac_f32 v4, v61, v2
	scratch_load_b32 v0, off, off offset:28 ; 4-byte Folded Reload
	v_fmac_f32_e32 v7, v61, v43
	v_fmac_f32_e32 v9, v60, v253
	v_dual_fmac_f32 v5, v60, v35 :: v_dual_fmac_f32 v4, v62, v40
	v_and_b32_e32 v94, 0xffff0000, v94
	s_delay_alu instid0(VALU_DEP_3) | instskip(NEXT) | instid1(VALU_DEP_3)
	v_dual_fmac_f32 v10, v60, v245 :: v_dual_fmac_f32 v9, v61, v254
	v_fmac_f32_e32 v5, v61, v41
	s_delay_alu instid0(VALU_DEP_4) | instskip(NEXT) | instid1(VALU_DEP_3)
	v_fmac_f32_e32 v4, v63, v49
	v_dual_fmac_f32 v13, v60, v221 :: v_dual_fmac_f32 v10, v61, v246
	s_delay_alu instid0(VALU_DEP_4) | instskip(NEXT) | instid1(VALU_DEP_4)
	v_fmac_f32_e32 v9, v62, v255
	v_fmac_f32_e32 v5, v62, v45
	s_delay_alu instid0(VALU_DEP_4) | instskip(NEXT) | instid1(VALU_DEP_4)
	v_fmac_f32_e32 v4, v52, v65
	v_dual_fmac_f32 v31, v60, v122 :: v_dual_fmac_f32 v10, v62, v247
	v_fmac_f32_e32 v33, v60, v120
	s_delay_alu instid0(VALU_DEP_3) | instskip(SKIP_3) | instid1(VALU_DEP_4)
	v_dual_fmac_f32 v5, v63, v50 :: v_dual_fmac_f32 v4, v53, v71
	v_fmac_f32_e32 v15, v60, v205
	v_fmac_f32_e32 v14, v60, v213
	;; [unrolled: 1-line block ×3, first 2 shown]
	v_dual_fmac_f32 v5, v52, v68 :: v_dual_fmac_f32 v4, v54, v79
	v_fmac_f32_e32 v28, v60, v125
	v_fmac_f32_e32 v27, v60, v126
	;; [unrolled: 1-line block ×4, first 2 shown]
	v_dual_fmac_f32 v4, v55, v88 :: v_dual_fmac_f32 v7, v62, v47
	v_dual_fmac_f32 v15, v61, v206 :: v_dual_lshlrev_b32 v196, 16, v116
	scratch_load_b32 v116, off, off         ; 4-byte Folded Reload
	v_fmac_f32_e32 v27, v61, v119
	v_fmac_f32_e32 v7, v63, v66
	;; [unrolled: 1-line block ×4, first 2 shown]
	v_dual_fmac_f32 v17, v60, v136 :: v_dual_fmac_f32 v32, v61, v138
	s_delay_alu instid0(VALU_DEP_4)
	v_fmac_f32_e32 v7, v52, v72
	v_fmac_f32_e32 v9, v63, v70
	;; [unrolled: 1-line block ×8, first 2 shown]
	v_dual_fmac_f32 v30, v60, v123 :: v_dual_lshlrev_b32 v133, 16, v101
	v_fmac_f32_e32 v13, v62, v223
	v_dual_fmac_f32 v32, v62, v142 :: v_dual_and_b32 v89, 0xffff0000, v89
	s_delay_alu instid0(VALU_DEP_4) | instskip(NEXT) | instid1(VALU_DEP_4)
	v_fmac_f32_e32 v10, v52, v249
	v_fmac_f32_e32 v30, v61, v140
	v_fmac_f32_e32 v20, v60, v133
	s_delay_alu instid0(VALU_DEP_4) | instskip(NEXT) | instid1(VALU_DEP_4)
	v_dual_fmac_f32 v23, v61, v89 :: v_dual_fmac_f32 v6, v60, v36
	v_fmac_f32_e32 v10, v53, v250
	v_fmac_f32_e32 v16, v60, v197
	v_and_b32_e32 v81, 0xffff0000, v81
	s_delay_alu instid0(VALU_DEP_4) | instskip(SKIP_1) | instid1(VALU_DEP_4)
	v_dual_fmac_f32 v23, v62, v151 :: v_dual_fmac_f32 v6, v61, v42
	v_fmac_f32_e32 v26, v60, v127
	v_fmac_f32_e32 v16, v61, v198
	;; [unrolled: 1-line block ×3, first 2 shown]
	s_delay_alu instid0(VALU_DEP_4) | instskip(SKIP_2) | instid1(VALU_DEP_4)
	v_fmac_f32_e32 v23, v63, v90
	v_dual_fmac_f32 v3, v61, v56 :: v_dual_fmac_f32 v6, v62, v46
	v_fmac_f32_e32 v5, v53, v74
	v_fmac_f32_e32 v33, v62, v141
	s_delay_alu instid0(VALU_DEP_4) | instskip(NEXT) | instid1(VALU_DEP_4)
	v_fmac_f32_e32 v23, v52, v183
	v_fmac_f32_e32 v3, v62, v39
	;; [unrolled: 1-line block ×3, first 2 shown]
	s_delay_alu instid0(VALU_DEP_4) | instskip(NEXT) | instid1(VALU_DEP_4)
	v_dual_fmac_f32 v10, v54, v251 :: v_dual_fmac_f32 v33, v63, v158
	v_fmac_f32_e32 v23, v53, v182
	v_dual_fmac_f32 v8, v61, v44 :: v_dual_and_b32 v77, 0xffff0000, v77
	v_lshlrev_b32_e32 v153, 16, v98
	s_delay_alu instid0(VALU_DEP_4)
	v_dual_fmac_f32 v33, v52, v180 :: v_dual_and_b32 v98, 0xffff0000, v98
	v_fmac_f32_e32 v3, v63, v57
	v_fmac_f32_e32 v6, v52, v69
	;; [unrolled: 1-line block ×7, first 2 shown]
	v_dual_fmac_f32 v6, v53, v75 :: v_dual_fmac_f32 v25, v60, v128
	v_fmac_f32_e32 v12, v61, v230
	v_dual_fmac_f32 v29, v61, v117 :: v_dual_lshlrev_b32 v156, 16, v110
	s_delay_alu instid0(VALU_DEP_4) | instskip(NEXT) | instid1(VALU_DEP_4)
	v_fmac_f32_e32 v8, v63, v67
	v_fmac_f32_e32 v6, v54, v84
	v_dual_fmac_f32 v31, v62, v143 :: v_dual_and_b32 v110, 0xffff0000, v110
	v_fmac_f32_e32 v25, v61, v81
	v_dual_fmac_f32 v30, v62, v144 :: v_dual_and_b32 v93, 0xffff0000, v93
	s_delay_alu instid0(VALU_DEP_4) | instskip(NEXT) | instid1(VALU_DEP_4)
	v_fmac_f32_e32 v6, v55, v96
	v_dual_fmac_f32 v8, v52, v73 :: v_dual_fmac_f32 v31, v63, v160
	s_delay_alu instid0(VALU_DEP_3) | instskip(SKIP_3) | instid1(VALU_DEP_4)
	v_dual_fmac_f32 v22, v61, v93 :: v_dual_lshlrev_b32 v157, 16, v114
	v_and_b32_e32 v109, 0xffff0000, v109
	v_dual_fmac_f32 v29, v62, v145 :: v_dual_and_b32 v114, 0xffff0000, v114
	v_fmac_f32_e32 v14, v62, v215
	v_fmac_f32_e32 v22, v62, v152
	s_delay_alu instid0(VALU_DEP_4) | instskip(SKIP_4) | instid1(VALU_DEP_4)
	v_fmac_f32_e32 v18, v61, v109
	v_fmac_f32_e32 v30, v63, v161
	;; [unrolled: 1-line block ×4, first 2 shown]
	v_dual_fmac_f32 v28, v62, v146 :: v_dual_and_b32 v97, 0xffff0000, v97
	v_fmac_f32_e32 v30, v52, v172
	v_dual_fmac_f32 v21, v60, v132 :: v_dual_and_b32 v164, 0xffff0000, v78
	v_fmac_f32_e32 v18, v62, v156
	s_delay_alu instid0(VALU_DEP_4) | instskip(NEXT) | instid1(VALU_DEP_3)
	v_dual_fmac_f32 v28, v63, v165 :: v_dual_fmac_f32 v27, v62, v147
	v_dual_fmac_f32 v21, v61, v97 :: v_dual_fmac_f32 v12, v62, v231
	v_fmac_f32_e32 v22, v63, v94
	s_delay_alu instid0(VALU_DEP_4) | instskip(SKIP_1) | instid1(VALU_DEP_4)
	v_fmac_f32_e32 v18, v63, v110
	v_fmac_f32_e32 v13, v63, v224
	v_dual_fmac_f32 v21, v62, v153 :: v_dual_fmac_f32 v28, v52, v170
	v_fmac_f32_e32 v5, v54, v83
	s_delay_alu instid0(VALU_DEP_2) | instskip(SKIP_1) | instid1(VALU_DEP_2)
	v_fmac_f32_e32 v21, v63, v98
	s_waitcnt vmcnt(0)
	v_dual_fmac_f32 v5, v55, v95 :: v_dual_fmac_f32 v34, v60, v116
	scratch_load_b32 v116, off, off offset:4 ; 4-byte Folded Reload
	s_waitcnt vmcnt(0)
	v_fmac_f32_e32 v34, v61, v116
	scratch_load_b32 v116, off, off offset:8 ; 4-byte Folded Reload
	s_waitcnt vmcnt(0)
	v_fmac_f32_e32 v34, v62, v116
	s_delay_alu instid0(VALU_DEP_1) | instskip(SKIP_3) | instid1(VALU_DEP_2)
	v_fmac_f32_e32 v34, v63, v0
	scratch_load_b32 v0, off, off offset:60 ; 4-byte Folded Reload
	v_fmac_f32_e32 v24, v60, v129
	v_fmac_f32_e32 v34, v52, v167
	;; [unrolled: 1-line block ×3, first 2 shown]
	s_delay_alu instid0(VALU_DEP_1) | instskip(NEXT) | instid1(VALU_DEP_1)
	v_dual_fmac_f32 v24, v62, v150 :: v_dual_and_b32 v105, 0xffff0000, v105
	v_fmac_f32_e32 v19, v61, v105
	v_fmac_f32_e32 v25, v63, v166
	s_delay_alu instid0(VALU_DEP_2) | instskip(NEXT) | instid1(VALU_DEP_1)
	v_fmac_f32_e32 v19, v62, v155
	v_fmac_f32_e32 v19, v63, v168
	s_waitcnt vmcnt(0)
	v_fmac_f32_e32 v34, v53, v0
	scratch_load_b32 v0, off, off offset:52 ; 4-byte Folded Reload
	v_fmac_f32_e32 v22, v52, v185
	s_delay_alu instid0(VALU_DEP_1)
	v_fmac_f32_e32 v22, v53, v178
	s_waitcnt vmcnt(0)
	v_fmac_f32_e32 v34, v54, v0
	scratch_load_b32 v0, off, off offset:12 ; 4-byte Folded Reload
	s_waitcnt vmcnt(0)
	v_dual_fmac_f32 v21, v52, v187 :: v_dual_fmac_f32 v34, v55, v0
	scratch_load_b32 v0, off, off offset:136 ; 4-byte Folded Reload
	s_waitcnt vmcnt(0)
	v_fmac_f32_e32 v33, v53, v0
	scratch_load_b32 v0, off, off offset:144 ; 4-byte Folded Reload
	v_fmac_f32_e32 v8, v53, v82
	v_fmac_f32_e32 v16, v62, v199
	s_delay_alu instid0(VALU_DEP_2) | instskip(NEXT) | instid1(VALU_DEP_1)
	v_dual_fmac_f32 v27, v63, v163 :: v_dual_fmac_f32 v8, v54, v92
	v_fmac_f32_e32 v27, v52, v106
	s_delay_alu instid0(VALU_DEP_2) | instskip(SKIP_2) | instid1(VALU_DEP_2)
	v_fmac_f32_e32 v8, v55, v102
	v_dual_fmac_f32 v11, v60, v237 :: v_dual_lshlrev_b32 v148, 16, v78
	v_and_b32_e32 v101, 0xffff0000, v101
	v_dual_fmac_f32 v27, v53, v190 :: v_dual_fmac_f32 v26, v62, v148
	s_delay_alu instid0(VALU_DEP_3) | instskip(NEXT) | instid1(VALU_DEP_3)
	v_fmac_f32_e32 v11, v61, v238
	v_fmac_f32_e32 v20, v61, v101
	v_dual_fmac_f32 v32, v63, v159 :: v_dual_fmac_f32 v31, v52, v174
	s_delay_alu instid0(VALU_DEP_4) | instskip(NEXT) | instid1(VALU_DEP_3)
	v_dual_fmac_f32 v26, v63, v164 :: v_dual_and_b32 v113, 0xffff0000, v113
	v_fmac_f32_e32 v20, v62, v154
	s_delay_alu instid0(VALU_DEP_3) | instskip(NEXT) | instid1(VALU_DEP_3)
	v_dual_fmac_f32 v32, v52, v176 :: v_dual_lshlrev_b32 v191, 16, v107
	v_dual_fmac_f32 v17, v61, v113 :: v_dual_and_b32 v86, 0xffff0000, v86
	s_delay_alu instid0(VALU_DEP_3) | instskip(SKIP_1) | instid1(VALU_DEP_3)
	v_dual_fmac_f32 v20, v63, v169 :: v_dual_fmac_f32 v29, v52, v171
	v_dual_fmac_f32 v11, v62, v239 :: v_dual_fmac_f32 v16, v63, v200
	;; [unrolled: 1-line block ×3, first 2 shown]
	s_delay_alu instid0(VALU_DEP_3) | instskip(SKIP_3) | instid1(VALU_DEP_4)
	v_dual_fmac_f32 v29, v53, v204 :: v_dual_fmac_f32 v26, v52, v177
	v_fmac_f32_e32 v24, v63, v86
	v_dual_fmac_f32 v12, v63, v232 :: v_dual_fmac_f32 v21, v53, v175
	v_fmac_f32_e32 v20, v52, v189
	v_fmac_f32_e32 v26, v53, v188
	s_delay_alu instid0(VALU_DEP_4) | instskip(SKIP_1) | instid1(VALU_DEP_4)
	v_dual_fmac_f32 v24, v52, v181 :: v_dual_lshlrev_b32 v195, 16, v115
	v_fmac_f32_e32 v18, v52, v193
	v_fmac_f32_e32 v20, v53, v173
	;; [unrolled: 1-line block ×3, first 2 shown]
	s_delay_alu instid0(VALU_DEP_4) | instskip(SKIP_4) | instid1(VALU_DEP_2)
	v_fmac_f32_e32 v24, v53, v184
	v_fmac_f32_e32 v12, v52, v233
	;; [unrolled: 1-line block ×3, first 2 shown]
	v_dual_fmac_f32 v20, v54, v212 :: v_dual_fmac_f32 v17, v63, v114
	v_dual_fmac_f32 v11, v63, v240 :: v_dual_fmac_f32 v16, v53, v202
	;; [unrolled: 1-line block ×3, first 2 shown]
	s_waitcnt vmcnt(0)
	v_fmac_f32_e32 v32, v53, v0
	scratch_load_b32 v0, off, off offset:152 ; 4-byte Folded Reload
	v_fmac_f32_e32 v19, v52, v191
	s_waitcnt vmcnt(0)
	v_fmac_f32_e32 v31, v53, v0
	scratch_load_b32 v0, off, off offset:160 ; 4-byte Folded Reload
	s_waitcnt vmcnt(0)
	v_dual_fmac_f32 v30, v53, v0 :: v_dual_and_b32 v107, 0xffff0000, v107
	scratch_load_b32 v0, off, off offset:68 ; 4-byte Folded Reload
	v_fmac_f32_e32 v19, v53, v107
	s_delay_alu instid0(VALU_DEP_1)
	v_fmac_f32_e32 v19, v54, v104
	s_waitcnt vmcnt(0)
	v_fmac_f32_e32 v33, v54, v0
	scratch_load_b32 v0, off, off offset:76 ; 4-byte Folded Reload
	s_waitcnt vmcnt(0)
	v_fmac_f32_e32 v32, v54, v0
	scratch_load_b32 v0, off, off offset:84 ; 4-byte Folded Reload
	v_fmac_f32_e32 v16, v54, v203
	s_delay_alu instid0(VALU_DEP_1)
	v_dual_fmac_f32 v16, v55, v112 :: v_dual_fmac_f32 v9, v53, v87
	s_waitcnt vmcnt(0)
	v_fmac_f32_e32 v31, v54, v0
	scratch_load_b32 v0, off, off offset:92 ; 4-byte Folded Reload
	s_waitcnt vmcnt(0)
	v_fmac_f32_e32 v30, v54, v0
	scratch_load_b32 v0, off, off offset:100 ; 4-byte Folded Reload
	v_fmac_f32_e32 v15, v62, v207
	s_delay_alu instid0(VALU_DEP_1) | instskip(SKIP_2) | instid1(VALU_DEP_2)
	v_fmac_f32_e32 v15, v63, v208
	v_dual_fmac_f32 v14, v63, v216 :: v_dual_fmac_f32 v25, v52, v179
	v_fmac_f32_e32 v12, v53, v234
	v_fmac_f32_e32 v25, v53, v186
	s_waitcnt vmcnt(0)
	v_fmac_f32_e32 v29, v54, v0
	scratch_load_b32 v0, off, off offset:108 ; 4-byte Folded Reload
	s_waitcnt vmcnt(0)
	v_fmac_f32_e32 v28, v54, v0
	scratch_load_b32 v0, off, off offset:116 ; 4-byte Folded Reload
	v_fmac_f32_e32 v15, v52, v209
	s_delay_alu instid0(VALU_DEP_1)
	v_fmac_f32_e32 v15, v53, v210
	s_waitcnt vmcnt(0)
	v_fmac_f32_e32 v27, v54, v0
	scratch_load_b32 v0, off, off offset:124 ; 4-byte Folded Reload
	s_waitcnt vmcnt(0)
	v_fmac_f32_e32 v26, v54, v0
	scratch_load_b32 v0, off, off offset:128 ; 4-byte Folded Reload
	v_fmac_f32_e32 v15, v54, v211
	s_delay_alu instid0(VALU_DEP_1)
	v_fmac_f32_e32 v15, v55, v108
	s_waitcnt vmcnt(0)
	v_fmac_f32_e32 v25, v54, v0
	scratch_load_b32 v0, off, off offset:132 ; 4-byte Folded Reload
	s_waitcnt vmcnt(0)
	v_fmac_f32_e32 v24, v54, v0
	scratch_load_b32 v0, off, off offset:140 ; 4-byte Folded Reload
	s_waitcnt vmcnt(0)
	v_dual_fmac_f32 v23, v54, v0 :: v_dual_and_b32 v58, 0xffff0000, v58
	scratch_load_b32 v0, off, off offset:148 ; 4-byte Folded Reload
	s_waitcnt vmcnt(0)
	v_dual_fmac_f32 v3, v53, v58 :: v_dual_fmac_f32 v22, v54, v0
	scratch_load_b32 v0, off, off offset:156 ; 4-byte Folded Reload
	v_lshlrev_b32_e32 v78, 16, v59
	v_dual_fmac_f32 v14, v52, v217 :: v_dual_and_b32 v115, 0xffff0000, v115
	s_delay_alu instid0(VALU_DEP_1) | instskip(NEXT) | instid1(VALU_DEP_2)
	v_dual_fmac_f32 v14, v53, v218 :: v_dual_and_b32 v59, 0xffff0000, v59
	v_fmac_f32_e32 v17, v53, v115
	s_delay_alu instid0(VALU_DEP_2) | instskip(NEXT) | instid1(VALU_DEP_2)
	v_dual_fmac_f32 v7, v53, v80 :: v_dual_fmac_f32 v14, v54, v219
	v_fmac_f32_e32 v17, v54, v196
	s_delay_alu instid0(VALU_DEP_2) | instskip(SKIP_1) | instid1(VALU_DEP_2)
	v_dual_fmac_f32 v7, v54, v91 :: v_dual_fmac_f32 v14, v55, v220
	v_fmac_f32_e32 v9, v54, v99
	v_fmac_f32_e32 v7, v55, v100
	s_waitcnt vmcnt(0)
	v_fmac_f32_e32 v21, v54, v0
	scratch_load_b32 v0, off, off offset:16 ; 4-byte Folded Reload
	v_fmac_f32_e32 v3, v54, v78
	s_delay_alu instid0(VALU_DEP_1)
	v_fmac_f32_e32 v3, v55, v59
	s_waitcnt vmcnt(0)
	v_fmac_f32_e32 v33, v55, v0
	scratch_load_b32 v0, off, off offset:20 ; 4-byte Folded Reload
	s_waitcnt vmcnt(0)
	v_fmac_f32_e32 v32, v55, v0
	scratch_load_b32 v0, off, off offset:24 ; 4-byte Folded Reload
	v_dual_fmac_f32 v12, v54, v235 :: v_dual_fmac_f32 v13, v52, v225
	s_delay_alu instid0(VALU_DEP_1) | instskip(SKIP_1) | instid1(VALU_DEP_2)
	v_dual_fmac_f32 v12, v55, v236 :: v_dual_fmac_f32 v13, v53, v226
	v_fmac_f32_e32 v9, v55, v103
	v_fmac_f32_e32 v13, v54, v227
	s_delay_alu instid0(VALU_DEP_1)
	v_fmac_f32_e32 v13, v55, v228
	s_waitcnt vmcnt(0)
	v_fmac_f32_e32 v31, v55, v0
	scratch_load_b32 v0, off, off offset:32 ; 4-byte Folded Reload
	s_waitcnt vmcnt(0)
	v_fmac_f32_e32 v30, v55, v0
	scratch_load_b32 v0, off, off offset:36 ; 4-byte Folded Reload
	;; [unrolled: 3-line block ×4, first 2 shown]
	v_dual_fmac_f32 v11, v52, v241 :: v_dual_fmac_f32 v10, v55, v252
	s_delay_alu instid0(VALU_DEP_1)
	v_fmac_f32_e32 v11, v53, v242
	s_waitcnt vmcnt(0)
	v_fmac_f32_e32 v27, v55, v0
	scratch_load_b32 v0, off, off offset:48 ; 4-byte Folded Reload
	s_waitcnt vmcnt(0)
	v_fmac_f32_e32 v26, v55, v0
	scratch_load_b32 v0, off, off offset:56 ; 4-byte Folded Reload
	v_fmac_f32_e32 v11, v54, v243
	s_delay_alu instid0(VALU_DEP_1)
	v_fmac_f32_e32 v11, v55, v244
	s_waitcnt vmcnt(0)
	v_fmac_f32_e32 v25, v55, v0
	scratch_load_b32 v0, off, off offset:64 ; 4-byte Folded Reload
	s_waitcnt vmcnt(0)
	v_fmac_f32_e32 v24, v55, v0
	scratch_load_b32 v0, off, off offset:72 ; 4-byte Folded Reload
	;; [unrolled: 3-line block ×8, first 2 shown]
	s_waitcnt vmcnt(0)
	v_fmac_f32_e32 v17, v55, v0
	s_cbranch_scc0 .LBB63_1
; %bb.2:
	scratch_load_b32 v41, off, off offset:176 ; 4-byte Folded Reload
	v_mbcnt_lo_u32_b32 v36, -1, 0
	s_delay_alu instid0(VALU_DEP_1) | instskip(SKIP_1) | instid1(VALU_DEP_2)
	v_xor_b32_e32 v1, 16, v36
	v_xor_b32_e32 v2, 8, v36
	v_cmp_gt_i32_e32 vcc_lo, 32, v1
	v_cndmask_b32_e32 v1, v36, v1, vcc_lo
	s_delay_alu instid0(VALU_DEP_3) | instskip(SKIP_1) | instid1(VALU_DEP_1)
	v_cmp_gt_i32_e32 vcc_lo, 32, v2
	v_cndmask_b32_e32 v2, v36, v2, vcc_lo
	v_lshlrev_b32_e32 v2, 2, v2
	s_delay_alu instid0(VALU_DEP_4)
	v_lshlrev_b32_e32 v1, 2, v1
	ds_bpermute_b32 v35, v1, v34
	s_waitcnt lgkmcnt(0)
	v_add_f32_e32 v35, v34, v35
	v_xor_b32_e32 v34, 4, v36
	ds_bpermute_b32 v37, v2, v35
	v_cmp_gt_i32_e32 vcc_lo, 32, v34
	v_cndmask_b32_e32 v34, v36, v34, vcc_lo
	s_waitcnt lgkmcnt(0)
	s_delay_alu instid0(VALU_DEP_1)
	v_dual_add_f32 v37, v35, v37 :: v_dual_lshlrev_b32 v34, 2, v34
	v_xor_b32_e32 v35, 2, v36
	ds_bpermute_b32 v38, v34, v37
	v_cmp_gt_i32_e32 vcc_lo, 32, v35
	s_waitcnt lgkmcnt(0)
	v_dual_cndmask_b32 v35, v36, v35 :: v_dual_add_f32 v38, v37, v38
	v_xor_b32_e32 v37, 1, v36
	s_delay_alu instid0(VALU_DEP_1) | instskip(NEXT) | instid1(VALU_DEP_3)
	v_cmp_gt_i32_e32 vcc_lo, 32, v37
	v_dual_cndmask_b32 v36, v36, v37 :: v_dual_lshlrev_b32 v35, 2, v35
	ds_bpermute_b32 v39, v35, v38
	s_waitcnt lgkmcnt(0)
	v_dual_add_f32 v38, v38, v39 :: v_dual_lshlrev_b32 v37, 2, v36
	ds_bpermute_b32 v39, v37, v38
	s_waitcnt vmcnt(0)
	v_and_b32_e32 v36, 31, v41
	v_lshrrev_b32_e32 v40, 5, v41
	s_delay_alu instid0(VALU_DEP_2) | instskip(NEXT) | instid1(VALU_DEP_2)
	v_cmp_eq_u32_e32 vcc_lo, 0, v36
	v_lshlrev_b32_e32 v36, 2, v40
	s_and_saveexec_b32 s0, vcc_lo
	s_cbranch_execz .LBB63_4
; %bb.3:
	s_waitcnt lgkmcnt(0)
	v_add_f32_e32 v0, v38, v39
	ds_store_b32 v36, v0
.LBB63_4:
	s_or_b32 exec_lo, exec_lo, s0
	ds_bpermute_b32 v0, v1, v33
	s_waitcnt lgkmcnt(0)
	v_add_f32_e32 v0, v33, v0
	ds_bpermute_b32 v33, v2, v0
	s_waitcnt lgkmcnt(0)
	v_add_f32_e32 v0, v0, v33
	ds_bpermute_b32 v33, v34, v0
	s_waitcnt lgkmcnt(0)
	v_add_f32_e32 v0, v0, v33
	ds_bpermute_b32 v33, v35, v0
	s_waitcnt lgkmcnt(0)
	v_add_f32_e32 v33, v0, v33
	ds_bpermute_b32 v38, v37, v33
	s_and_saveexec_b32 s0, vcc_lo
	s_cbranch_execz .LBB63_6
; %bb.5:
	s_waitcnt lgkmcnt(0)
	v_add_f32_e32 v0, v33, v38
	ds_store_b32 v36, v0 offset:16
.LBB63_6:
	s_or_b32 exec_lo, exec_lo, s0
	ds_bpermute_b32 v0, v1, v32
	s_waitcnt lgkmcnt(0)
	v_add_f32_e32 v0, v32, v0
	ds_bpermute_b32 v32, v2, v0
	s_waitcnt lgkmcnt(0)
	v_add_f32_e32 v0, v0, v32
	ds_bpermute_b32 v32, v34, v0
	s_waitcnt lgkmcnt(0)
	v_add_f32_e32 v0, v0, v32
	ds_bpermute_b32 v32, v35, v0
	s_waitcnt lgkmcnt(0)
	v_add_f32_e32 v32, v0, v32
	ds_bpermute_b32 v33, v37, v32
	s_and_saveexec_b32 s0, vcc_lo
	s_cbranch_execz .LBB63_8
; %bb.7:
	s_waitcnt lgkmcnt(0)
	v_add_f32_e32 v0, v32, v33
	ds_store_b32 v36, v0 offset:32
.LBB63_8:
	;; [unrolled: 21-line block ×31, first 2 shown]
	s_or_b32 exec_lo, exec_lo, s0
	s_waitcnt lgkmcnt(0)
	s_waitcnt_vscnt null, 0x0
	s_barrier
	buffer_gl0_inv
	s_mov_b32 s0, exec_lo
	v_cmpx_eq_u32_e32 0, v41
	s_cbranch_execz .LBB63_68
; %bb.67:
	v_mov_b32_e32 v40, 0
	s_ashr_i32 s3, s2, 31
	ds_load_b128 v[0:3], v40
	ds_load_b128 v[4:7], v40 offset:16
	ds_load_b128 v[8:11], v40 offset:32
	ds_load_b128 v[12:15], v40 offset:48
	ds_load_b128 v[16:19], v40 offset:64
	ds_load_b128 v[20:23], v40 offset:80
	ds_load_b128 v[24:27], v40 offset:96
	ds_load_b128 v[28:31], v40 offset:112
	ds_load_b128 v[32:35], v40 offset:128
	s_lshl_b64 s[0:1], s[2:3], 2
	s_delay_alu instid0(SALU_CYCLE_1)
	s_add_u32 s0, s4, s0
	s_addc_u32 s1, s5, s1
	s_waitcnt lgkmcnt(5)
	v_add_f32_e32 v12, 0, v12
	v_add_f32_e32 v0, 0, v0
	s_waitcnt lgkmcnt(3)
	v_add_f32_e32 v20, 0, v20
	v_add_f32_e32 v4, 0, v4
	;; [unrolled: 3-line block ×3, first 2 shown]
	v_add_f32_e32 v0, v0, v1
	v_dual_add_f32 v16, 0, v16 :: v_dual_add_f32 v1, v4, v5
	ds_load_b128 v[36:39], v40 offset:144
	v_add_f32_e32 v0, v0, v2
	v_add_f32_e32 v1, v1, v6
	;; [unrolled: 1-line block ×12, first 2 shown]
	s_delay_alu instid0(VALU_DEP_1) | instskip(NEXT) | instid1(VALU_DEP_4)
	v_add_f32_e32 v12, v24, v25
	v_add_f32_e32 v24, v2, v11
	ds_load_b128 v[0:3], v40 offset:160
	v_add_f32_e32 v8, v16, v17
	s_waitcnt lgkmcnt(1)
	v_dual_add_f32 v25, v4, v15 :: v_dual_add_f32 v30, 0, v36
	s_delay_alu instid0(VALU_DEP_2) | instskip(NEXT) | instid1(VALU_DEP_1)
	v_add_f32_e32 v5, v8, v18
	v_dual_add_f32 v28, v5, v19 :: v_dual_add_f32 v5, v12, v26
	s_delay_alu instid0(VALU_DEP_1) | instskip(SKIP_2) | instid1(VALU_DEP_1)
	v_add_f32_e32 v26, v5, v27
	s_waitcnt lgkmcnt(0)
	v_dual_add_f32 v27, v6, v31 :: v_dual_add_f32 v0, 0, v0
	v_add_f32_e32 v0, v0, v1
	s_delay_alu instid0(VALU_DEP_1) | instskip(SKIP_1) | instid1(VALU_DEP_1)
	v_add_f32_e32 v0, v0, v2
	v_add_f32_e32 v4, v9, v22
	v_dual_add_f32 v32, 0, v32 :: v_dual_add_f32 v23, v4, v23
	s_delay_alu instid0(VALU_DEP_1) | instskip(NEXT) | instid1(VALU_DEP_1)
	v_add_f32_e32 v7, v32, v33
	v_add_f32_e32 v29, v7, v34
	ds_load_b128 v[4:7], v40 offset:176
	ds_load_b128 v[8:11], v40 offset:192
	;; [unrolled: 1-line block ×4, first 2 shown]
	v_mov_b32_e32 v22, 0x1000
	s_clause 0x7
	global_store_b32 v40, v20, s[0:1]
	global_store_b32 v40, v21, s[0:1] offset:1024
	global_store_b32 v40, v24, s[0:1] offset:2048
	;; [unrolled: 1-line block ×3, first 2 shown]
	global_store_b32 v22, v28, s[0:1]
	global_store_b32 v22, v23, s[0:1] offset:1024
	global_store_b32 v22, v26, s[0:1] offset:2048
	;; [unrolled: 1-line block ×3, first 2 shown]
	v_add_f32_e32 v24, v30, v37
	ds_load_b128 v[20:23], v40 offset:240
	v_dual_add_f32 v36, v29, v35 :: v_dual_mov_b32 v37, 0x2000
	v_add_f32_e32 v28, v24, v38
	ds_load_b128 v[24:27], v40 offset:256
	v_add_f32_e32 v38, v28, v39
	ds_load_b128 v[28:31], v40 offset:272
	ds_load_b128 v[32:35], v40 offset:288
	v_add_f32_e32 v39, v0, v3
	s_waitcnt lgkmcnt(7)
	v_add_f32_e32 v1, 0, v4
	s_waitcnt lgkmcnt(6)
	s_delay_alu instid0(VALU_DEP_1) | instskip(NEXT) | instid1(VALU_DEP_1)
	v_dual_add_f32 v4, 0, v8 :: v_dual_add_f32 v1, v1, v5
	v_add_f32_e32 v2, v4, v9
	s_waitcnt lgkmcnt(5)
	v_add_f32_e32 v4, 0, v12
	s_waitcnt lgkmcnt(4)
	v_dual_add_f32 v5, 0, v16 :: v_dual_add_f32 v0, v1, v6
	s_delay_alu instid0(VALU_DEP_2) | instskip(SKIP_1) | instid1(VALU_DEP_2)
	v_dual_add_f32 v1, v2, v10 :: v_dual_add_f32 v2, v4, v13
	s_waitcnt lgkmcnt(3)
	v_dual_add_f32 v3, v5, v17 :: v_dual_add_f32 v4, 0, v20
	s_delay_alu instid0(VALU_DEP_3) | instskip(NEXT) | instid1(VALU_DEP_3)
	v_add_f32_e32 v20, v0, v7
	v_dual_add_f32 v41, v1, v11 :: v_dual_add_f32 v0, v2, v14
	s_delay_alu instid0(VALU_DEP_3)
	v_dual_add_f32 v1, v3, v18 :: v_dual_add_f32 v2, v4, v21
	s_waitcnt lgkmcnt(2)
	v_add_f32_e32 v3, 0, v24
	ds_load_b128 v[4:7], v40 offset:320
	v_add_f32_e32 v24, v0, v15
	v_add_f32_e32 v42, v1, v19
	v_dual_add_f32 v8, v2, v22 :: v_dual_add_f32 v9, v3, v25
	ds_load_b128 v[0:3], v40 offset:304
	s_waitcnt lgkmcnt(3)
	v_add_f32_e32 v10, 0, v28
	s_waitcnt lgkmcnt(2)
	v_dual_add_f32 v11, 0, v32 :: v_dual_add_f32 v22, v8, v23
	v_add_f32_e32 v23, v9, v26
	v_mov_b32_e32 v21, 0x3000
	v_add_f32_e32 v25, v10, v29
	s_delay_alu instid0(VALU_DEP_4)
	v_add_f32_e32 v26, v11, v33
	ds_load_b128 v[8:11], v40 offset:336
	ds_load_b128 v[12:15], v40 offset:352
	;; [unrolled: 1-line block ×3, first 2 shown]
	v_dual_add_f32 v32, v23, v27 :: v_dual_mov_b32 v33, 0x4000
	s_waitcnt lgkmcnt(4)
	v_add_f32_e32 v4, 0, v4
	s_waitcnt lgkmcnt(3)
	v_add_f32_e32 v0, 0, v0
	s_delay_alu instid0(VALU_DEP_1) | instskip(NEXT) | instid1(VALU_DEP_3)
	v_add_f32_e32 v0, v0, v1
	v_add_f32_e32 v1, v4, v5
	s_waitcnt lgkmcnt(1)
	v_add_f32_e32 v5, 0, v12
	s_clause 0x7
	global_store_b32 v37, v36, s[0:1]
	global_store_b32 v37, v38, s[0:1] offset:1024
	global_store_b32 v37, v39, s[0:1] offset:2048
	global_store_b32 v37, v20, s[0:1] offset:3072
	global_store_b32 v21, v41, s[0:1]
	global_store_b32 v21, v24, s[0:1] offset:1024
	global_store_b32 v21, v42, s[0:1] offset:2048
	;; [unrolled: 1-line block ×3, first 2 shown]
	v_add_f32_e32 v24, v25, v30
	v_add_f32_e32 v25, v26, v34
	ds_load_b128 v[20:23], v40 offset:384
	v_add_f32_e32 v4, 0, v8
	v_add_f32_e32 v0, v0, v2
	;; [unrolled: 1-line block ×4, first 2 shown]
	ds_load_b128 v[24:27], v40 offset:400
	ds_load_b128 v[28:31], v40 offset:416
	s_waitcnt lgkmcnt(3)
	v_dual_add_f32 v2, 0, v16 :: v_dual_add_f32 v1, v1, v6
	v_add_f32_e32 v4, v4, v9
	v_dual_add_f32 v5, v5, v13 :: v_dual_add_f32 v36, v0, v3
	s_delay_alu instid0(VALU_DEP_3) | instskip(NEXT) | instid1(VALU_DEP_3)
	v_dual_add_f32 v0, v2, v17 :: v_dual_add_f32 v37, v1, v7
	v_add_f32_e32 v1, v4, v10
	s_delay_alu instid0(VALU_DEP_3) | instskip(NEXT) | instid1(VALU_DEP_3)
	v_add_f32_e32 v2, v5, v14
	v_add_f32_e32 v0, v0, v18
	s_waitcnt lgkmcnt(2)
	s_delay_alu instid0(VALU_DEP_3) | instskip(NEXT) | instid1(VALU_DEP_3)
	v_dual_add_f32 v38, v1, v11 :: v_dual_add_f32 v3, 0, v20
	v_dual_add_f32 v39, v2, v15 :: v_dual_mov_b32 v20, 0x5000
	s_waitcnt lgkmcnt(1)
	s_delay_alu instid0(VALU_DEP_2)
	v_dual_add_f32 v4, v3, v21 :: v_dual_add_f32 v5, 0, v24
	v_add_f32_e32 v21, v0, v19
	ds_load_b128 v[0:3], v40 offset:432
	s_waitcnt lgkmcnt(1)
	v_add_f32_e32 v12, 0, v28
	v_add_f32_e32 v22, v4, v22
	;; [unrolled: 1-line block ×3, first 2 shown]
	ds_load_b128 v[4:7], v40 offset:448
	ds_load_b128 v[8:11], v40 offset:464
	v_add_f32_e32 v25, v12, v29
	ds_load_b128 v[12:15], v40 offset:480
	ds_load_b128 v[16:19], v40 offset:496
	v_dual_add_f32 v22, v22, v23 :: v_dual_mov_b32 v23, 0x6000
	s_waitcnt lgkmcnt(4)
	v_add_f32_e32 v0, 0, v0
	s_waitcnt lgkmcnt(3)
	v_add_f32_e32 v4, 0, v4
	s_waitcnt lgkmcnt(2)
	s_delay_alu instid0(VALU_DEP_2)
	v_dual_add_f32 v0, v0, v1 :: v_dual_add_f32 v1, 0, v8
	s_waitcnt lgkmcnt(1)
	v_add_f32_e32 v8, 0, v12
	s_waitcnt lgkmcnt(0)
	v_add_f32_e32 v12, 0, v16
	v_add_f32_e32 v4, v4, v5
	v_dual_add_f32 v0, v0, v2 :: v_dual_add_f32 v1, v1, v9
	v_add_f32_e32 v2, v8, v13
	s_delay_alu instid0(VALU_DEP_4)
	v_add_f32_e32 v5, v12, v17
	s_clause 0x7
	global_store_b32 v33, v32, s[0:1]
	global_store_b32 v33, v34, s[0:1] offset:1024
	global_store_b32 v33, v35, s[0:1] offset:2048
	;; [unrolled: 1-line block ×3, first 2 shown]
	global_store_b32 v20, v37, s[0:1]
	global_store_b32 v20, v38, s[0:1] offset:1024
	global_store_b32 v20, v39, s[0:1] offset:2048
	global_store_b32 v20, v21, s[0:1] offset:3072
	v_add_f32_e32 v20, v24, v26
	v_add_f32_e32 v21, v25, v30
	v_add_f32_e32 v4, v4, v6
	v_dual_add_f32 v0, v0, v3 :: v_dual_add_f32 v1, v1, v10
	v_add_f32_e32 v2, v2, v14
	v_dual_add_f32 v3, v5, v18 :: v_dual_add_f32 v20, v20, v27
	v_add_f32_e32 v21, v21, v31
	v_dual_add_f32 v4, v4, v7 :: v_dual_mov_b32 v5, 0x7000
	v_add_f32_e32 v1, v1, v11
	v_add_f32_e32 v2, v2, v15
	;; [unrolled: 1-line block ×3, first 2 shown]
	s_clause 0x7
	global_store_b32 v23, v22, s[0:1]
	global_store_b32 v23, v20, s[0:1] offset:1024
	global_store_b32 v23, v21, s[0:1] offset:2048
	;; [unrolled: 1-line block ×3, first 2 shown]
	global_store_b32 v5, v4, s[0:1]
	global_store_b32 v5, v1, s[0:1] offset:1024
	global_store_b32 v5, v2, s[0:1] offset:2048
	;; [unrolled: 1-line block ×3, first 2 shown]
.LBB63_68:
	s_nop 0
	s_sendmsg sendmsg(MSG_DEALLOC_VGPRS)
	s_endpgm
	.section	.rodata,"a",@progbits
	.p2align	6, 0x0
	.amdhsa_kernel _Z23fp32_router_gemm_kernelI14__hip_bfloat16Li128ELi32ELi256ELi3072EEvPfPKT_PKf
		.amdhsa_group_segment_fixed_size 512
		.amdhsa_private_segment_fixed_size 184
		.amdhsa_kernarg_size 24
		.amdhsa_user_sgpr_count 15
		.amdhsa_user_sgpr_dispatch_ptr 0
		.amdhsa_user_sgpr_queue_ptr 0
		.amdhsa_user_sgpr_kernarg_segment_ptr 1
		.amdhsa_user_sgpr_dispatch_id 0
		.amdhsa_user_sgpr_private_segment_size 0
		.amdhsa_wavefront_size32 1
		.amdhsa_uses_dynamic_stack 0
		.amdhsa_enable_private_segment 1
		.amdhsa_system_sgpr_workgroup_id_x 1
		.amdhsa_system_sgpr_workgroup_id_y 0
		.amdhsa_system_sgpr_workgroup_id_z 0
		.amdhsa_system_sgpr_workgroup_info 0
		.amdhsa_system_vgpr_workitem_id 0
		.amdhsa_next_free_vgpr 256
		.amdhsa_next_free_sgpr 16
		.amdhsa_reserve_vcc 1
		.amdhsa_float_round_mode_32 0
		.amdhsa_float_round_mode_16_64 0
		.amdhsa_float_denorm_mode_32 3
		.amdhsa_float_denorm_mode_16_64 3
		.amdhsa_dx10_clamp 1
		.amdhsa_ieee_mode 1
		.amdhsa_fp16_overflow 0
		.amdhsa_workgroup_processor_mode 1
		.amdhsa_memory_ordered 1
		.amdhsa_forward_progress 0
		.amdhsa_shared_vgpr_count 0
		.amdhsa_exception_fp_ieee_invalid_op 0
		.amdhsa_exception_fp_denorm_src 0
		.amdhsa_exception_fp_ieee_div_zero 0
		.amdhsa_exception_fp_ieee_overflow 0
		.amdhsa_exception_fp_ieee_underflow 0
		.amdhsa_exception_fp_ieee_inexact 0
		.amdhsa_exception_int_div_zero 0
	.end_amdhsa_kernel
	.section	.text._Z23fp32_router_gemm_kernelI14__hip_bfloat16Li128ELi32ELi256ELi3072EEvPfPKT_PKf,"axG",@progbits,_Z23fp32_router_gemm_kernelI14__hip_bfloat16Li128ELi32ELi256ELi3072EEvPfPKT_PKf,comdat
.Lfunc_end63:
	.size	_Z23fp32_router_gemm_kernelI14__hip_bfloat16Li128ELi32ELi256ELi3072EEvPfPKT_PKf, .Lfunc_end63-_Z23fp32_router_gemm_kernelI14__hip_bfloat16Li128ELi32ELi256ELi3072EEvPfPKT_PKf
                                        ; -- End function
	.section	.AMDGPU.csdata,"",@progbits
; Kernel info:
; codeLenInByte = 9500
; NumSgprs: 18
; NumVgprs: 256
; ScratchSize: 184
; MemoryBound: 0
; FloatMode: 240
; IeeeMode: 1
; LDSByteSize: 512 bytes/workgroup (compile time only)
; SGPRBlocks: 2
; VGPRBlocks: 31
; NumSGPRsForWavesPerEU: 18
; NumVGPRsForWavesPerEU: 256
; Occupancy: 5
; WaveLimiterHint : 1
; COMPUTE_PGM_RSRC2:SCRATCH_EN: 1
; COMPUTE_PGM_RSRC2:USER_SGPR: 15
; COMPUTE_PGM_RSRC2:TRAP_HANDLER: 0
; COMPUTE_PGM_RSRC2:TGID_X_EN: 1
; COMPUTE_PGM_RSRC2:TGID_Y_EN: 0
; COMPUTE_PGM_RSRC2:TGID_Z_EN: 0
; COMPUTE_PGM_RSRC2:TIDIG_COMP_CNT: 0
	.text
	.p2alignl 7, 3214868480
	.fill 96, 4, 3214868480
	.type	__hip_cuid_854e172006607a9a,@object ; @__hip_cuid_854e172006607a9a
	.section	.bss,"aw",@nobits
	.globl	__hip_cuid_854e172006607a9a
__hip_cuid_854e172006607a9a:
	.byte	0                               ; 0x0
	.size	__hip_cuid_854e172006607a9a, 1

	.ident	"AMD clang version 19.0.0git (https://github.com/RadeonOpenCompute/llvm-project roc-6.4.0 25133 c7fe45cf4b819c5991fe208aaa96edf142730f1d)"
	.section	".note.GNU-stack","",@progbits
	.addrsig
	.addrsig_sym __hip_cuid_854e172006607a9a
	.amdgpu_metadata
---
amdhsa.kernels:
  - .args:
      - .address_space:  global
        .offset:         0
        .size:           8
        .value_kind:     global_buffer
      - .address_space:  global
        .offset:         8
        .size:           8
        .value_kind:     global_buffer
      - .address_space:  global
        .offset:         16
        .size:           8
        .value_kind:     global_buffer
    .group_segment_fixed_size: 16
    .kernarg_segment_align: 8
    .kernarg_segment_size: 24
    .language:       OpenCL C
    .language_version:
      - 2
      - 0
    .max_flat_workgroup_size: 128
    .name:           _Z23fp32_router_gemm_kernelIfLi128ELi1ELi256ELi3072EEvPfPKT_PKf
    .private_segment_fixed_size: 0
    .sgpr_count:     18
    .sgpr_spill_count: 0
    .symbol:         _Z23fp32_router_gemm_kernelIfLi128ELi1ELi256ELi3072EEvPfPKT_PKf.kd
    .uniform_work_group_size: 1
    .uses_dynamic_stack: false
    .vgpr_count:     49
    .vgpr_spill_count: 0
    .wavefront_size: 32
    .workgroup_processor_mode: 1
  - .args:
      - .address_space:  global
        .offset:         0
        .size:           8
        .value_kind:     global_buffer
      - .address_space:  global
        .offset:         8
        .size:           8
        .value_kind:     global_buffer
      - .address_space:  global
        .offset:         16
        .size:           8
        .value_kind:     global_buffer
    .group_segment_fixed_size: 32
    .kernarg_segment_align: 8
    .kernarg_segment_size: 24
    .language:       OpenCL C
    .language_version:
      - 2
      - 0
    .max_flat_workgroup_size: 128
    .name:           _Z23fp32_router_gemm_kernelIfLi128ELi2ELi256ELi3072EEvPfPKT_PKf
    .private_segment_fixed_size: 0
    .sgpr_count:     18
    .sgpr_spill_count: 0
    .symbol:         _Z23fp32_router_gemm_kernelIfLi128ELi2ELi256ELi3072EEvPfPKT_PKf.kd
    .uniform_work_group_size: 1
    .uses_dynamic_stack: false
    .vgpr_count:     74
    .vgpr_spill_count: 0
    .wavefront_size: 32
    .workgroup_processor_mode: 1
  - .args:
      - .address_space:  global
        .offset:         0
        .size:           8
        .value_kind:     global_buffer
      - .address_space:  global
        .offset:         8
        .size:           8
        .value_kind:     global_buffer
      - .address_space:  global
        .offset:         16
        .size:           8
        .value_kind:     global_buffer
    .group_segment_fixed_size: 48
    .kernarg_segment_align: 8
    .kernarg_segment_size: 24
    .language:       OpenCL C
    .language_version:
      - 2
      - 0
    .max_flat_workgroup_size: 128
    .name:           _Z23fp32_router_gemm_kernelIfLi128ELi3ELi256ELi3072EEvPfPKT_PKf
    .private_segment_fixed_size: 0
    .sgpr_count:     18
    .sgpr_spill_count: 0
    .symbol:         _Z23fp32_router_gemm_kernelIfLi128ELi3ELi256ELi3072EEvPfPKT_PKf.kd
    .uniform_work_group_size: 1
    .uses_dynamic_stack: false
    .vgpr_count:     92
    .vgpr_spill_count: 0
    .wavefront_size: 32
    .workgroup_processor_mode: 1
  - .args:
      - .address_space:  global
        .offset:         0
        .size:           8
        .value_kind:     global_buffer
      - .address_space:  global
        .offset:         8
        .size:           8
        .value_kind:     global_buffer
      - .address_space:  global
        .offset:         16
        .size:           8
        .value_kind:     global_buffer
    .group_segment_fixed_size: 64
    .kernarg_segment_align: 8
    .kernarg_segment_size: 24
    .language:       OpenCL C
    .language_version:
      - 2
      - 0
    .max_flat_workgroup_size: 128
    .name:           _Z23fp32_router_gemm_kernelIfLi128ELi4ELi256ELi3072EEvPfPKT_PKf
    .private_segment_fixed_size: 0
    .sgpr_count:     18
    .sgpr_spill_count: 0
    .symbol:         _Z23fp32_router_gemm_kernelIfLi128ELi4ELi256ELi3072EEvPfPKT_PKf.kd
    .uniform_work_group_size: 1
    .uses_dynamic_stack: false
    .vgpr_count:     116
    .vgpr_spill_count: 0
    .wavefront_size: 32
    .workgroup_processor_mode: 1
  - .args:
      - .address_space:  global
        .offset:         0
        .size:           8
        .value_kind:     global_buffer
      - .address_space:  global
        .offset:         8
        .size:           8
        .value_kind:     global_buffer
      - .address_space:  global
        .offset:         16
        .size:           8
        .value_kind:     global_buffer
    .group_segment_fixed_size: 80
    .kernarg_segment_align: 8
    .kernarg_segment_size: 24
    .language:       OpenCL C
    .language_version:
      - 2
      - 0
    .max_flat_workgroup_size: 128
    .name:           _Z23fp32_router_gemm_kernelIfLi128ELi5ELi256ELi3072EEvPfPKT_PKf
    .private_segment_fixed_size: 0
    .sgpr_count:     18
    .sgpr_spill_count: 0
    .symbol:         _Z23fp32_router_gemm_kernelIfLi128ELi5ELi256ELi3072EEvPfPKT_PKf.kd
    .uniform_work_group_size: 1
    .uses_dynamic_stack: false
    .vgpr_count:     140
    .vgpr_spill_count: 0
    .wavefront_size: 32
    .workgroup_processor_mode: 1
  - .args:
      - .address_space:  global
        .offset:         0
        .size:           8
        .value_kind:     global_buffer
      - .address_space:  global
        .offset:         8
        .size:           8
        .value_kind:     global_buffer
      - .address_space:  global
        .offset:         16
        .size:           8
        .value_kind:     global_buffer
    .group_segment_fixed_size: 96
    .kernarg_segment_align: 8
    .kernarg_segment_size: 24
    .language:       OpenCL C
    .language_version:
      - 2
      - 0
    .max_flat_workgroup_size: 128
    .name:           _Z23fp32_router_gemm_kernelIfLi128ELi6ELi256ELi3072EEvPfPKT_PKf
    .private_segment_fixed_size: 0
    .sgpr_count:     18
    .sgpr_spill_count: 0
    .symbol:         _Z23fp32_router_gemm_kernelIfLi128ELi6ELi256ELi3072EEvPfPKT_PKf.kd
    .uniform_work_group_size: 1
    .uses_dynamic_stack: false
    .vgpr_count:     166
    .vgpr_spill_count: 0
    .wavefront_size: 32
    .workgroup_processor_mode: 1
  - .args:
      - .address_space:  global
        .offset:         0
        .size:           8
        .value_kind:     global_buffer
      - .address_space:  global
        .offset:         8
        .size:           8
        .value_kind:     global_buffer
      - .address_space:  global
        .offset:         16
        .size:           8
        .value_kind:     global_buffer
    .group_segment_fixed_size: 112
    .kernarg_segment_align: 8
    .kernarg_segment_size: 24
    .language:       OpenCL C
    .language_version:
      - 2
      - 0
    .max_flat_workgroup_size: 128
    .name:           _Z23fp32_router_gemm_kernelIfLi128ELi7ELi256ELi3072EEvPfPKT_PKf
    .private_segment_fixed_size: 0
    .sgpr_count:     18
    .sgpr_spill_count: 0
    .symbol:         _Z23fp32_router_gemm_kernelIfLi128ELi7ELi256ELi3072EEvPfPKT_PKf.kd
    .uniform_work_group_size: 1
    .uses_dynamic_stack: false
    .vgpr_count:     190
    .vgpr_spill_count: 0
    .wavefront_size: 32
    .workgroup_processor_mode: 1
  - .args:
      - .address_space:  global
        .offset:         0
        .size:           8
        .value_kind:     global_buffer
      - .address_space:  global
        .offset:         8
        .size:           8
        .value_kind:     global_buffer
      - .address_space:  global
        .offset:         16
        .size:           8
        .value_kind:     global_buffer
    .group_segment_fixed_size: 128
    .kernarg_segment_align: 8
    .kernarg_segment_size: 24
    .language:       OpenCL C
    .language_version:
      - 2
      - 0
    .max_flat_workgroup_size: 128
    .name:           _Z23fp32_router_gemm_kernelIfLi128ELi8ELi256ELi3072EEvPfPKT_PKf
    .private_segment_fixed_size: 0
    .sgpr_count:     18
    .sgpr_spill_count: 0
    .symbol:         _Z23fp32_router_gemm_kernelIfLi128ELi8ELi256ELi3072EEvPfPKT_PKf.kd
    .uniform_work_group_size: 1
    .uses_dynamic_stack: false
    .vgpr_count:     214
    .vgpr_spill_count: 0
    .wavefront_size: 32
    .workgroup_processor_mode: 1
  - .args:
      - .address_space:  global
        .offset:         0
        .size:           8
        .value_kind:     global_buffer
      - .address_space:  global
        .offset:         8
        .size:           8
        .value_kind:     global_buffer
      - .address_space:  global
        .offset:         16
        .size:           8
        .value_kind:     global_buffer
    .group_segment_fixed_size: 144
    .kernarg_segment_align: 8
    .kernarg_segment_size: 24
    .language:       OpenCL C
    .language_version:
      - 2
      - 0
    .max_flat_workgroup_size: 128
    .name:           _Z23fp32_router_gemm_kernelIfLi128ELi9ELi256ELi3072EEvPfPKT_PKf
    .private_segment_fixed_size: 0
    .sgpr_count:     18
    .sgpr_spill_count: 0
    .symbol:         _Z23fp32_router_gemm_kernelIfLi128ELi9ELi256ELi3072EEvPfPKT_PKf.kd
    .uniform_work_group_size: 1
    .uses_dynamic_stack: false
    .vgpr_count:     56
    .vgpr_spill_count: 0
    .wavefront_size: 32
    .workgroup_processor_mode: 1
  - .args:
      - .address_space:  global
        .offset:         0
        .size:           8
        .value_kind:     global_buffer
      - .address_space:  global
        .offset:         8
        .size:           8
        .value_kind:     global_buffer
      - .address_space:  global
        .offset:         16
        .size:           8
        .value_kind:     global_buffer
    .group_segment_fixed_size: 160
    .kernarg_segment_align: 8
    .kernarg_segment_size: 24
    .language:       OpenCL C
    .language_version:
      - 2
      - 0
    .max_flat_workgroup_size: 128
    .name:           _Z23fp32_router_gemm_kernelIfLi128ELi10ELi256ELi3072EEvPfPKT_PKf
    .private_segment_fixed_size: 0
    .sgpr_count:     18
    .sgpr_spill_count: 0
    .symbol:         _Z23fp32_router_gemm_kernelIfLi128ELi10ELi256ELi3072EEvPfPKT_PKf.kd
    .uniform_work_group_size: 1
    .uses_dynamic_stack: false
    .vgpr_count:     61
    .vgpr_spill_count: 0
    .wavefront_size: 32
    .workgroup_processor_mode: 1
  - .args:
      - .address_space:  global
        .offset:         0
        .size:           8
        .value_kind:     global_buffer
      - .address_space:  global
        .offset:         8
        .size:           8
        .value_kind:     global_buffer
      - .address_space:  global
        .offset:         16
        .size:           8
        .value_kind:     global_buffer
    .group_segment_fixed_size: 176
    .kernarg_segment_align: 8
    .kernarg_segment_size: 24
    .language:       OpenCL C
    .language_version:
      - 2
      - 0
    .max_flat_workgroup_size: 128
    .name:           _Z23fp32_router_gemm_kernelIfLi128ELi11ELi256ELi3072EEvPfPKT_PKf
    .private_segment_fixed_size: 0
    .sgpr_count:     18
    .sgpr_spill_count: 0
    .symbol:         _Z23fp32_router_gemm_kernelIfLi128ELi11ELi256ELi3072EEvPfPKT_PKf.kd
    .uniform_work_group_size: 1
    .uses_dynamic_stack: false
    .vgpr_count:     66
    .vgpr_spill_count: 0
    .wavefront_size: 32
    .workgroup_processor_mode: 1
  - .args:
      - .address_space:  global
        .offset:         0
        .size:           8
        .value_kind:     global_buffer
      - .address_space:  global
        .offset:         8
        .size:           8
        .value_kind:     global_buffer
      - .address_space:  global
        .offset:         16
        .size:           8
        .value_kind:     global_buffer
    .group_segment_fixed_size: 192
    .kernarg_segment_align: 8
    .kernarg_segment_size: 24
    .language:       OpenCL C
    .language_version:
      - 2
      - 0
    .max_flat_workgroup_size: 128
    .name:           _Z23fp32_router_gemm_kernelIfLi128ELi12ELi256ELi3072EEvPfPKT_PKf
    .private_segment_fixed_size: 0
    .sgpr_count:     18
    .sgpr_spill_count: 0
    .symbol:         _Z23fp32_router_gemm_kernelIfLi128ELi12ELi256ELi3072EEvPfPKT_PKf.kd
    .uniform_work_group_size: 1
    .uses_dynamic_stack: false
    .vgpr_count:     71
    .vgpr_spill_count: 0
    .wavefront_size: 32
    .workgroup_processor_mode: 1
  - .args:
      - .address_space:  global
        .offset:         0
        .size:           8
        .value_kind:     global_buffer
      - .address_space:  global
        .offset:         8
        .size:           8
        .value_kind:     global_buffer
      - .address_space:  global
        .offset:         16
        .size:           8
        .value_kind:     global_buffer
    .group_segment_fixed_size: 208
    .kernarg_segment_align: 8
    .kernarg_segment_size: 24
    .language:       OpenCL C
    .language_version:
      - 2
      - 0
    .max_flat_workgroup_size: 128
    .name:           _Z23fp32_router_gemm_kernelIfLi128ELi13ELi256ELi3072EEvPfPKT_PKf
    .private_segment_fixed_size: 0
    .sgpr_count:     18
    .sgpr_spill_count: 0
    .symbol:         _Z23fp32_router_gemm_kernelIfLi128ELi13ELi256ELi3072EEvPfPKT_PKf.kd
    .uniform_work_group_size: 1
    .uses_dynamic_stack: false
    .vgpr_count:     76
    .vgpr_spill_count: 0
    .wavefront_size: 32
    .workgroup_processor_mode: 1
  - .args:
      - .address_space:  global
        .offset:         0
        .size:           8
        .value_kind:     global_buffer
      - .address_space:  global
        .offset:         8
        .size:           8
        .value_kind:     global_buffer
      - .address_space:  global
        .offset:         16
        .size:           8
        .value_kind:     global_buffer
    .group_segment_fixed_size: 224
    .kernarg_segment_align: 8
    .kernarg_segment_size: 24
    .language:       OpenCL C
    .language_version:
      - 2
      - 0
    .max_flat_workgroup_size: 128
    .name:           _Z23fp32_router_gemm_kernelIfLi128ELi14ELi256ELi3072EEvPfPKT_PKf
    .private_segment_fixed_size: 0
    .sgpr_count:     18
    .sgpr_spill_count: 0
    .symbol:         _Z23fp32_router_gemm_kernelIfLi128ELi14ELi256ELi3072EEvPfPKT_PKf.kd
    .uniform_work_group_size: 1
    .uses_dynamic_stack: false
    .vgpr_count:     81
    .vgpr_spill_count: 0
    .wavefront_size: 32
    .workgroup_processor_mode: 1
  - .args:
      - .address_space:  global
        .offset:         0
        .size:           8
        .value_kind:     global_buffer
      - .address_space:  global
        .offset:         8
        .size:           8
        .value_kind:     global_buffer
      - .address_space:  global
        .offset:         16
        .size:           8
        .value_kind:     global_buffer
    .group_segment_fixed_size: 240
    .kernarg_segment_align: 8
    .kernarg_segment_size: 24
    .language:       OpenCL C
    .language_version:
      - 2
      - 0
    .max_flat_workgroup_size: 128
    .name:           _Z23fp32_router_gemm_kernelIfLi128ELi15ELi256ELi3072EEvPfPKT_PKf
    .private_segment_fixed_size: 0
    .sgpr_count:     18
    .sgpr_spill_count: 0
    .symbol:         _Z23fp32_router_gemm_kernelIfLi128ELi15ELi256ELi3072EEvPfPKT_PKf.kd
    .uniform_work_group_size: 1
    .uses_dynamic_stack: false
    .vgpr_count:     86
    .vgpr_spill_count: 0
    .wavefront_size: 32
    .workgroup_processor_mode: 1
  - .args:
      - .address_space:  global
        .offset:         0
        .size:           8
        .value_kind:     global_buffer
      - .address_space:  global
        .offset:         8
        .size:           8
        .value_kind:     global_buffer
      - .address_space:  global
        .offset:         16
        .size:           8
        .value_kind:     global_buffer
    .group_segment_fixed_size: 256
    .kernarg_segment_align: 8
    .kernarg_segment_size: 24
    .language:       OpenCL C
    .language_version:
      - 2
      - 0
    .max_flat_workgroup_size: 128
    .name:           _Z23fp32_router_gemm_kernelIfLi128ELi16ELi256ELi3072EEvPfPKT_PKf
    .private_segment_fixed_size: 0
    .sgpr_count:     18
    .sgpr_spill_count: 0
    .symbol:         _Z23fp32_router_gemm_kernelIfLi128ELi16ELi256ELi3072EEvPfPKT_PKf.kd
    .uniform_work_group_size: 1
    .uses_dynamic_stack: false
    .vgpr_count:     91
    .vgpr_spill_count: 0
    .wavefront_size: 32
    .workgroup_processor_mode: 1
  - .args:
      - .address_space:  global
        .offset:         0
        .size:           8
        .value_kind:     global_buffer
      - .address_space:  global
        .offset:         8
        .size:           8
        .value_kind:     global_buffer
      - .address_space:  global
        .offset:         16
        .size:           8
        .value_kind:     global_buffer
    .group_segment_fixed_size: 272
    .kernarg_segment_align: 8
    .kernarg_segment_size: 24
    .language:       OpenCL C
    .language_version:
      - 2
      - 0
    .max_flat_workgroup_size: 128
    .name:           _Z23fp32_router_gemm_kernelIfLi128ELi17ELi256ELi3072EEvPfPKT_PKf
    .private_segment_fixed_size: 0
    .sgpr_count:     18
    .sgpr_spill_count: 0
    .symbol:         _Z23fp32_router_gemm_kernelIfLi128ELi17ELi256ELi3072EEvPfPKT_PKf.kd
    .uniform_work_group_size: 1
    .uses_dynamic_stack: false
    .vgpr_count:     92
    .vgpr_spill_count: 0
    .wavefront_size: 32
    .workgroup_processor_mode: 1
  - .args:
      - .address_space:  global
        .offset:         0
        .size:           8
        .value_kind:     global_buffer
      - .address_space:  global
        .offset:         8
        .size:           8
        .value_kind:     global_buffer
      - .address_space:  global
        .offset:         16
        .size:           8
        .value_kind:     global_buffer
    .group_segment_fixed_size: 288
    .kernarg_segment_align: 8
    .kernarg_segment_size: 24
    .language:       OpenCL C
    .language_version:
      - 2
      - 0
    .max_flat_workgroup_size: 128
    .name:           _Z23fp32_router_gemm_kernelIfLi128ELi18ELi256ELi3072EEvPfPKT_PKf
    .private_segment_fixed_size: 0
    .sgpr_count:     18
    .sgpr_spill_count: 0
    .symbol:         _Z23fp32_router_gemm_kernelIfLi128ELi18ELi256ELi3072EEvPfPKT_PKf.kd
    .uniform_work_group_size: 1
    .uses_dynamic_stack: false
    .vgpr_count:     93
    .vgpr_spill_count: 0
    .wavefront_size: 32
    .workgroup_processor_mode: 1
  - .args:
      - .address_space:  global
        .offset:         0
        .size:           8
        .value_kind:     global_buffer
      - .address_space:  global
        .offset:         8
        .size:           8
        .value_kind:     global_buffer
      - .address_space:  global
        .offset:         16
        .size:           8
        .value_kind:     global_buffer
    .group_segment_fixed_size: 304
    .kernarg_segment_align: 8
    .kernarg_segment_size: 24
    .language:       OpenCL C
    .language_version:
      - 2
      - 0
    .max_flat_workgroup_size: 128
    .name:           _Z23fp32_router_gemm_kernelIfLi128ELi19ELi256ELi3072EEvPfPKT_PKf
    .private_segment_fixed_size: 0
    .sgpr_count:     18
    .sgpr_spill_count: 0
    .symbol:         _Z23fp32_router_gemm_kernelIfLi128ELi19ELi256ELi3072EEvPfPKT_PKf.kd
    .uniform_work_group_size: 1
    .uses_dynamic_stack: false
    .vgpr_count:     92
    .vgpr_spill_count: 0
    .wavefront_size: 32
    .workgroup_processor_mode: 1
  - .args:
      - .address_space:  global
        .offset:         0
        .size:           8
        .value_kind:     global_buffer
      - .address_space:  global
        .offset:         8
        .size:           8
        .value_kind:     global_buffer
      - .address_space:  global
        .offset:         16
        .size:           8
        .value_kind:     global_buffer
    .group_segment_fixed_size: 320
    .kernarg_segment_align: 8
    .kernarg_segment_size: 24
    .language:       OpenCL C
    .language_version:
      - 2
      - 0
    .max_flat_workgroup_size: 128
    .name:           _Z23fp32_router_gemm_kernelIfLi128ELi20ELi256ELi3072EEvPfPKT_PKf
    .private_segment_fixed_size: 0
    .sgpr_count:     18
    .sgpr_spill_count: 0
    .symbol:         _Z23fp32_router_gemm_kernelIfLi128ELi20ELi256ELi3072EEvPfPKT_PKf.kd
    .uniform_work_group_size: 1
    .uses_dynamic_stack: false
    .vgpr_count:     93
    .vgpr_spill_count: 0
    .wavefront_size: 32
    .workgroup_processor_mode: 1
  - .args:
      - .address_space:  global
        .offset:         0
        .size:           8
        .value_kind:     global_buffer
      - .address_space:  global
        .offset:         8
        .size:           8
        .value_kind:     global_buffer
      - .address_space:  global
        .offset:         16
        .size:           8
        .value_kind:     global_buffer
    .group_segment_fixed_size: 336
    .kernarg_segment_align: 8
    .kernarg_segment_size: 24
    .language:       OpenCL C
    .language_version:
      - 2
      - 0
    .max_flat_workgroup_size: 128
    .name:           _Z23fp32_router_gemm_kernelIfLi128ELi21ELi256ELi3072EEvPfPKT_PKf
    .private_segment_fixed_size: 0
    .sgpr_count:     18
    .sgpr_spill_count: 0
    .symbol:         _Z23fp32_router_gemm_kernelIfLi128ELi21ELi256ELi3072EEvPfPKT_PKf.kd
    .uniform_work_group_size: 1
    .uses_dynamic_stack: false
    .vgpr_count:     92
    .vgpr_spill_count: 0
    .wavefront_size: 32
    .workgroup_processor_mode: 1
  - .args:
      - .address_space:  global
        .offset:         0
        .size:           8
        .value_kind:     global_buffer
      - .address_space:  global
        .offset:         8
        .size:           8
        .value_kind:     global_buffer
      - .address_space:  global
        .offset:         16
        .size:           8
        .value_kind:     global_buffer
    .group_segment_fixed_size: 352
    .kernarg_segment_align: 8
    .kernarg_segment_size: 24
    .language:       OpenCL C
    .language_version:
      - 2
      - 0
    .max_flat_workgroup_size: 128
    .name:           _Z23fp32_router_gemm_kernelIfLi128ELi22ELi256ELi3072EEvPfPKT_PKf
    .private_segment_fixed_size: 0
    .sgpr_count:     18
    .sgpr_spill_count: 0
    .symbol:         _Z23fp32_router_gemm_kernelIfLi128ELi22ELi256ELi3072EEvPfPKT_PKf.kd
    .uniform_work_group_size: 1
    .uses_dynamic_stack: false
    .vgpr_count:     93
    .vgpr_spill_count: 0
    .wavefront_size: 32
    .workgroup_processor_mode: 1
  - .args:
      - .address_space:  global
        .offset:         0
        .size:           8
        .value_kind:     global_buffer
      - .address_space:  global
        .offset:         8
        .size:           8
        .value_kind:     global_buffer
      - .address_space:  global
        .offset:         16
        .size:           8
        .value_kind:     global_buffer
    .group_segment_fixed_size: 368
    .kernarg_segment_align: 8
    .kernarg_segment_size: 24
    .language:       OpenCL C
    .language_version:
      - 2
      - 0
    .max_flat_workgroup_size: 128
    .name:           _Z23fp32_router_gemm_kernelIfLi128ELi23ELi256ELi3072EEvPfPKT_PKf
    .private_segment_fixed_size: 0
    .sgpr_count:     18
    .sgpr_spill_count: 0
    .symbol:         _Z23fp32_router_gemm_kernelIfLi128ELi23ELi256ELi3072EEvPfPKT_PKf.kd
    .uniform_work_group_size: 1
    .uses_dynamic_stack: false
    .vgpr_count:     92
    .vgpr_spill_count: 0
    .wavefront_size: 32
    .workgroup_processor_mode: 1
  - .args:
      - .address_space:  global
        .offset:         0
        .size:           8
        .value_kind:     global_buffer
      - .address_space:  global
        .offset:         8
        .size:           8
        .value_kind:     global_buffer
      - .address_space:  global
        .offset:         16
        .size:           8
        .value_kind:     global_buffer
    .group_segment_fixed_size: 384
    .kernarg_segment_align: 8
    .kernarg_segment_size: 24
    .language:       OpenCL C
    .language_version:
      - 2
      - 0
    .max_flat_workgroup_size: 128
    .name:           _Z23fp32_router_gemm_kernelIfLi128ELi24ELi256ELi3072EEvPfPKT_PKf
    .private_segment_fixed_size: 0
    .sgpr_count:     18
    .sgpr_spill_count: 0
    .symbol:         _Z23fp32_router_gemm_kernelIfLi128ELi24ELi256ELi3072EEvPfPKT_PKf.kd
    .uniform_work_group_size: 1
    .uses_dynamic_stack: false
    .vgpr_count:     93
    .vgpr_spill_count: 0
    .wavefront_size: 32
    .workgroup_processor_mode: 1
  - .args:
      - .address_space:  global
        .offset:         0
        .size:           8
        .value_kind:     global_buffer
      - .address_space:  global
        .offset:         8
        .size:           8
        .value_kind:     global_buffer
      - .address_space:  global
        .offset:         16
        .size:           8
        .value_kind:     global_buffer
    .group_segment_fixed_size: 400
    .kernarg_segment_align: 8
    .kernarg_segment_size: 24
    .language:       OpenCL C
    .language_version:
      - 2
      - 0
    .max_flat_workgroup_size: 128
    .name:           _Z23fp32_router_gemm_kernelIfLi128ELi25ELi256ELi3072EEvPfPKT_PKf
    .private_segment_fixed_size: 0
    .sgpr_count:     18
    .sgpr_spill_count: 0
    .symbol:         _Z23fp32_router_gemm_kernelIfLi128ELi25ELi256ELi3072EEvPfPKT_PKf.kd
    .uniform_work_group_size: 1
    .uses_dynamic_stack: false
    .vgpr_count:     92
    .vgpr_spill_count: 0
    .wavefront_size: 32
    .workgroup_processor_mode: 1
  - .args:
      - .address_space:  global
        .offset:         0
        .size:           8
        .value_kind:     global_buffer
      - .address_space:  global
        .offset:         8
        .size:           8
        .value_kind:     global_buffer
      - .address_space:  global
        .offset:         16
        .size:           8
        .value_kind:     global_buffer
    .group_segment_fixed_size: 416
    .kernarg_segment_align: 8
    .kernarg_segment_size: 24
    .language:       OpenCL C
    .language_version:
      - 2
      - 0
    .max_flat_workgroup_size: 128
    .name:           _Z23fp32_router_gemm_kernelIfLi128ELi26ELi256ELi3072EEvPfPKT_PKf
    .private_segment_fixed_size: 0
    .sgpr_count:     18
    .sgpr_spill_count: 0
    .symbol:         _Z23fp32_router_gemm_kernelIfLi128ELi26ELi256ELi3072EEvPfPKT_PKf.kd
    .uniform_work_group_size: 1
    .uses_dynamic_stack: false
    .vgpr_count:     93
    .vgpr_spill_count: 0
    .wavefront_size: 32
    .workgroup_processor_mode: 1
  - .args:
      - .address_space:  global
        .offset:         0
        .size:           8
        .value_kind:     global_buffer
      - .address_space:  global
        .offset:         8
        .size:           8
        .value_kind:     global_buffer
      - .address_space:  global
        .offset:         16
        .size:           8
        .value_kind:     global_buffer
    .group_segment_fixed_size: 432
    .kernarg_segment_align: 8
    .kernarg_segment_size: 24
    .language:       OpenCL C
    .language_version:
      - 2
      - 0
    .max_flat_workgroup_size: 128
    .name:           _Z23fp32_router_gemm_kernelIfLi128ELi27ELi256ELi3072EEvPfPKT_PKf
    .private_segment_fixed_size: 0
    .sgpr_count:     18
    .sgpr_spill_count: 0
    .symbol:         _Z23fp32_router_gemm_kernelIfLi128ELi27ELi256ELi3072EEvPfPKT_PKf.kd
    .uniform_work_group_size: 1
    .uses_dynamic_stack: false
    .vgpr_count:     94
    .vgpr_spill_count: 0
    .wavefront_size: 32
    .workgroup_processor_mode: 1
  - .args:
      - .address_space:  global
        .offset:         0
        .size:           8
        .value_kind:     global_buffer
      - .address_space:  global
        .offset:         8
        .size:           8
        .value_kind:     global_buffer
      - .address_space:  global
        .offset:         16
        .size:           8
        .value_kind:     global_buffer
    .group_segment_fixed_size: 448
    .kernarg_segment_align: 8
    .kernarg_segment_size: 24
    .language:       OpenCL C
    .language_version:
      - 2
      - 0
    .max_flat_workgroup_size: 128
    .name:           _Z23fp32_router_gemm_kernelIfLi128ELi28ELi256ELi3072EEvPfPKT_PKf
    .private_segment_fixed_size: 0
    .sgpr_count:     18
    .sgpr_spill_count: 0
    .symbol:         _Z23fp32_router_gemm_kernelIfLi128ELi28ELi256ELi3072EEvPfPKT_PKf.kd
    .uniform_work_group_size: 1
    .uses_dynamic_stack: false
    .vgpr_count:     97
    .vgpr_spill_count: 0
    .wavefront_size: 32
    .workgroup_processor_mode: 1
  - .args:
      - .address_space:  global
        .offset:         0
        .size:           8
        .value_kind:     global_buffer
      - .address_space:  global
        .offset:         8
        .size:           8
        .value_kind:     global_buffer
      - .address_space:  global
        .offset:         16
        .size:           8
        .value_kind:     global_buffer
    .group_segment_fixed_size: 464
    .kernarg_segment_align: 8
    .kernarg_segment_size: 24
    .language:       OpenCL C
    .language_version:
      - 2
      - 0
    .max_flat_workgroup_size: 128
    .name:           _Z23fp32_router_gemm_kernelIfLi128ELi29ELi256ELi3072EEvPfPKT_PKf
    .private_segment_fixed_size: 0
    .sgpr_count:     18
    .sgpr_spill_count: 0
    .symbol:         _Z23fp32_router_gemm_kernelIfLi128ELi29ELi256ELi3072EEvPfPKT_PKf.kd
    .uniform_work_group_size: 1
    .uses_dynamic_stack: false
    .vgpr_count:     100
    .vgpr_spill_count: 0
    .wavefront_size: 32
    .workgroup_processor_mode: 1
  - .args:
      - .address_space:  global
        .offset:         0
        .size:           8
        .value_kind:     global_buffer
      - .address_space:  global
        .offset:         8
        .size:           8
        .value_kind:     global_buffer
      - .address_space:  global
        .offset:         16
        .size:           8
        .value_kind:     global_buffer
    .group_segment_fixed_size: 480
    .kernarg_segment_align: 8
    .kernarg_segment_size: 24
    .language:       OpenCL C
    .language_version:
      - 2
      - 0
    .max_flat_workgroup_size: 128
    .name:           _Z23fp32_router_gemm_kernelIfLi128ELi30ELi256ELi3072EEvPfPKT_PKf
    .private_segment_fixed_size: 0
    .sgpr_count:     18
    .sgpr_spill_count: 0
    .symbol:         _Z23fp32_router_gemm_kernelIfLi128ELi30ELi256ELi3072EEvPfPKT_PKf.kd
    .uniform_work_group_size: 1
    .uses_dynamic_stack: false
    .vgpr_count:     103
    .vgpr_spill_count: 0
    .wavefront_size: 32
    .workgroup_processor_mode: 1
  - .args:
      - .address_space:  global
        .offset:         0
        .size:           8
        .value_kind:     global_buffer
      - .address_space:  global
        .offset:         8
        .size:           8
        .value_kind:     global_buffer
      - .address_space:  global
        .offset:         16
        .size:           8
        .value_kind:     global_buffer
    .group_segment_fixed_size: 496
    .kernarg_segment_align: 8
    .kernarg_segment_size: 24
    .language:       OpenCL C
    .language_version:
      - 2
      - 0
    .max_flat_workgroup_size: 128
    .name:           _Z23fp32_router_gemm_kernelIfLi128ELi31ELi256ELi3072EEvPfPKT_PKf
    .private_segment_fixed_size: 0
    .sgpr_count:     18
    .sgpr_spill_count: 0
    .symbol:         _Z23fp32_router_gemm_kernelIfLi128ELi31ELi256ELi3072EEvPfPKT_PKf.kd
    .uniform_work_group_size: 1
    .uses_dynamic_stack: false
    .vgpr_count:     106
    .vgpr_spill_count: 0
    .wavefront_size: 32
    .workgroup_processor_mode: 1
  - .args:
      - .address_space:  global
        .offset:         0
        .size:           8
        .value_kind:     global_buffer
      - .address_space:  global
        .offset:         8
        .size:           8
        .value_kind:     global_buffer
      - .address_space:  global
        .offset:         16
        .size:           8
        .value_kind:     global_buffer
    .group_segment_fixed_size: 512
    .kernarg_segment_align: 8
    .kernarg_segment_size: 24
    .language:       OpenCL C
    .language_version:
      - 2
      - 0
    .max_flat_workgroup_size: 128
    .name:           _Z23fp32_router_gemm_kernelIfLi128ELi32ELi256ELi3072EEvPfPKT_PKf
    .private_segment_fixed_size: 0
    .sgpr_count:     18
    .sgpr_spill_count: 0
    .symbol:         _Z23fp32_router_gemm_kernelIfLi128ELi32ELi256ELi3072EEvPfPKT_PKf.kd
    .uniform_work_group_size: 1
    .uses_dynamic_stack: false
    .vgpr_count:     109
    .vgpr_spill_count: 0
    .wavefront_size: 32
    .workgroup_processor_mode: 1
  - .args:
      - .address_space:  global
        .offset:         0
        .size:           8
        .value_kind:     global_buffer
      - .address_space:  global
        .offset:         8
        .size:           8
        .value_kind:     global_buffer
      - .address_space:  global
        .offset:         16
        .size:           8
        .value_kind:     global_buffer
    .group_segment_fixed_size: 16
    .kernarg_segment_align: 8
    .kernarg_segment_size: 24
    .language:       OpenCL C
    .language_version:
      - 2
      - 0
    .max_flat_workgroup_size: 128
    .name:           _Z23fp32_router_gemm_kernelI14__hip_bfloat16Li128ELi1ELi256ELi3072EEvPfPKT_PKf
    .private_segment_fixed_size: 0
    .sgpr_count:     18
    .sgpr_spill_count: 0
    .symbol:         _Z23fp32_router_gemm_kernelI14__hip_bfloat16Li128ELi1ELi256ELi3072EEvPfPKT_PKf.kd
    .uniform_work_group_size: 1
    .uses_dynamic_stack: false
    .vgpr_count:     38
    .vgpr_spill_count: 0
    .wavefront_size: 32
    .workgroup_processor_mode: 1
  - .args:
      - .address_space:  global
        .offset:         0
        .size:           8
        .value_kind:     global_buffer
      - .address_space:  global
        .offset:         8
        .size:           8
        .value_kind:     global_buffer
      - .address_space:  global
        .offset:         16
        .size:           8
        .value_kind:     global_buffer
    .group_segment_fixed_size: 32
    .kernarg_segment_align: 8
    .kernarg_segment_size: 24
    .language:       OpenCL C
    .language_version:
      - 2
      - 0
    .max_flat_workgroup_size: 128
    .name:           _Z23fp32_router_gemm_kernelI14__hip_bfloat16Li128ELi2ELi256ELi3072EEvPfPKT_PKf
    .private_segment_fixed_size: 0
    .sgpr_count:     18
    .sgpr_spill_count: 0
    .symbol:         _Z23fp32_router_gemm_kernelI14__hip_bfloat16Li128ELi2ELi256ELi3072EEvPfPKT_PKf.kd
    .uniform_work_group_size: 1
    .uses_dynamic_stack: false
    .vgpr_count:     51
    .vgpr_spill_count: 0
    .wavefront_size: 32
    .workgroup_processor_mode: 1
  - .args:
      - .address_space:  global
        .offset:         0
        .size:           8
        .value_kind:     global_buffer
      - .address_space:  global
        .offset:         8
        .size:           8
        .value_kind:     global_buffer
      - .address_space:  global
        .offset:         16
        .size:           8
        .value_kind:     global_buffer
    .group_segment_fixed_size: 48
    .kernarg_segment_align: 8
    .kernarg_segment_size: 24
    .language:       OpenCL C
    .language_version:
      - 2
      - 0
    .max_flat_workgroup_size: 128
    .name:           _Z23fp32_router_gemm_kernelI14__hip_bfloat16Li128ELi3ELi256ELi3072EEvPfPKT_PKf
    .private_segment_fixed_size: 0
    .sgpr_count:     18
    .sgpr_spill_count: 0
    .symbol:         _Z23fp32_router_gemm_kernelI14__hip_bfloat16Li128ELi3ELi256ELi3072EEvPfPKT_PKf.kd
    .uniform_work_group_size: 1
    .uses_dynamic_stack: false
    .vgpr_count:     63
    .vgpr_spill_count: 0
    .wavefront_size: 32
    .workgroup_processor_mode: 1
  - .args:
      - .address_space:  global
        .offset:         0
        .size:           8
        .value_kind:     global_buffer
      - .address_space:  global
        .offset:         8
        .size:           8
        .value_kind:     global_buffer
      - .address_space:  global
        .offset:         16
        .size:           8
        .value_kind:     global_buffer
    .group_segment_fixed_size: 64
    .kernarg_segment_align: 8
    .kernarg_segment_size: 24
    .language:       OpenCL C
    .language_version:
      - 2
      - 0
    .max_flat_workgroup_size: 128
    .name:           _Z23fp32_router_gemm_kernelI14__hip_bfloat16Li128ELi4ELi256ELi3072EEvPfPKT_PKf
    .private_segment_fixed_size: 0
    .sgpr_count:     18
    .sgpr_spill_count: 0
    .symbol:         _Z23fp32_router_gemm_kernelI14__hip_bfloat16Li128ELi4ELi256ELi3072EEvPfPKT_PKf.kd
    .uniform_work_group_size: 1
    .uses_dynamic_stack: false
    .vgpr_count:     75
    .vgpr_spill_count: 0
    .wavefront_size: 32
    .workgroup_processor_mode: 1
  - .args:
      - .address_space:  global
        .offset:         0
        .size:           8
        .value_kind:     global_buffer
      - .address_space:  global
        .offset:         8
        .size:           8
        .value_kind:     global_buffer
      - .address_space:  global
        .offset:         16
        .size:           8
        .value_kind:     global_buffer
    .group_segment_fixed_size: 80
    .kernarg_segment_align: 8
    .kernarg_segment_size: 24
    .language:       OpenCL C
    .language_version:
      - 2
      - 0
    .max_flat_workgroup_size: 128
    .name:           _Z23fp32_router_gemm_kernelI14__hip_bfloat16Li128ELi5ELi256ELi3072EEvPfPKT_PKf
    .private_segment_fixed_size: 0
    .sgpr_count:     18
    .sgpr_spill_count: 0
    .symbol:         _Z23fp32_router_gemm_kernelI14__hip_bfloat16Li128ELi5ELi256ELi3072EEvPfPKT_PKf.kd
    .uniform_work_group_size: 1
    .uses_dynamic_stack: false
    .vgpr_count:     87
    .vgpr_spill_count: 0
    .wavefront_size: 32
    .workgroup_processor_mode: 1
  - .args:
      - .address_space:  global
        .offset:         0
        .size:           8
        .value_kind:     global_buffer
      - .address_space:  global
        .offset:         8
        .size:           8
        .value_kind:     global_buffer
      - .address_space:  global
        .offset:         16
        .size:           8
        .value_kind:     global_buffer
    .group_segment_fixed_size: 96
    .kernarg_segment_align: 8
    .kernarg_segment_size: 24
    .language:       OpenCL C
    .language_version:
      - 2
      - 0
    .max_flat_workgroup_size: 128
    .name:           _Z23fp32_router_gemm_kernelI14__hip_bfloat16Li128ELi6ELi256ELi3072EEvPfPKT_PKf
    .private_segment_fixed_size: 0
    .sgpr_count:     18
    .sgpr_spill_count: 0
    .symbol:         _Z23fp32_router_gemm_kernelI14__hip_bfloat16Li128ELi6ELi256ELi3072EEvPfPKT_PKf.kd
    .uniform_work_group_size: 1
    .uses_dynamic_stack: false
    .vgpr_count:     94
    .vgpr_spill_count: 0
    .wavefront_size: 32
    .workgroup_processor_mode: 1
  - .args:
      - .address_space:  global
        .offset:         0
        .size:           8
        .value_kind:     global_buffer
      - .address_space:  global
        .offset:         8
        .size:           8
        .value_kind:     global_buffer
      - .address_space:  global
        .offset:         16
        .size:           8
        .value_kind:     global_buffer
    .group_segment_fixed_size: 112
    .kernarg_segment_align: 8
    .kernarg_segment_size: 24
    .language:       OpenCL C
    .language_version:
      - 2
      - 0
    .max_flat_workgroup_size: 128
    .name:           _Z23fp32_router_gemm_kernelI14__hip_bfloat16Li128ELi7ELi256ELi3072EEvPfPKT_PKf
    .private_segment_fixed_size: 0
    .sgpr_count:     18
    .sgpr_spill_count: 0
    .symbol:         _Z23fp32_router_gemm_kernelI14__hip_bfloat16Li128ELi7ELi256ELi3072EEvPfPKT_PKf.kd
    .uniform_work_group_size: 1
    .uses_dynamic_stack: false
    .vgpr_count:     73
    .vgpr_spill_count: 0
    .wavefront_size: 32
    .workgroup_processor_mode: 1
  - .args:
      - .address_space:  global
        .offset:         0
        .size:           8
        .value_kind:     global_buffer
      - .address_space:  global
        .offset:         8
        .size:           8
        .value_kind:     global_buffer
      - .address_space:  global
        .offset:         16
        .size:           8
        .value_kind:     global_buffer
    .group_segment_fixed_size: 128
    .kernarg_segment_align: 8
    .kernarg_segment_size: 24
    .language:       OpenCL C
    .language_version:
      - 2
      - 0
    .max_flat_workgroup_size: 128
    .name:           _Z23fp32_router_gemm_kernelI14__hip_bfloat16Li128ELi8ELi256ELi3072EEvPfPKT_PKf
    .private_segment_fixed_size: 0
    .sgpr_count:     18
    .sgpr_spill_count: 0
    .symbol:         _Z23fp32_router_gemm_kernelI14__hip_bfloat16Li128ELi8ELi256ELi3072EEvPfPKT_PKf.kd
    .uniform_work_group_size: 1
    .uses_dynamic_stack: false
    .vgpr_count:     82
    .vgpr_spill_count: 0
    .wavefront_size: 32
    .workgroup_processor_mode: 1
  - .args:
      - .address_space:  global
        .offset:         0
        .size:           8
        .value_kind:     global_buffer
      - .address_space:  global
        .offset:         8
        .size:           8
        .value_kind:     global_buffer
      - .address_space:  global
        .offset:         16
        .size:           8
        .value_kind:     global_buffer
    .group_segment_fixed_size: 144
    .kernarg_segment_align: 8
    .kernarg_segment_size: 24
    .language:       OpenCL C
    .language_version:
      - 2
      - 0
    .max_flat_workgroup_size: 128
    .name:           _Z23fp32_router_gemm_kernelI14__hip_bfloat16Li128ELi9ELi256ELi3072EEvPfPKT_PKf
    .private_segment_fixed_size: 0
    .sgpr_count:     18
    .sgpr_spill_count: 0
    .symbol:         _Z23fp32_router_gemm_kernelI14__hip_bfloat16Li128ELi9ELi256ELi3072EEvPfPKT_PKf.kd
    .uniform_work_group_size: 1
    .uses_dynamic_stack: false
    .vgpr_count:     94
    .vgpr_spill_count: 0
    .wavefront_size: 32
    .workgroup_processor_mode: 1
  - .args:
      - .address_space:  global
        .offset:         0
        .size:           8
        .value_kind:     global_buffer
      - .address_space:  global
        .offset:         8
        .size:           8
        .value_kind:     global_buffer
      - .address_space:  global
        .offset:         16
        .size:           8
        .value_kind:     global_buffer
    .group_segment_fixed_size: 160
    .kernarg_segment_align: 8
    .kernarg_segment_size: 24
    .language:       OpenCL C
    .language_version:
      - 2
      - 0
    .max_flat_workgroup_size: 128
    .name:           _Z23fp32_router_gemm_kernelI14__hip_bfloat16Li128ELi10ELi256ELi3072EEvPfPKT_PKf
    .private_segment_fixed_size: 0
    .sgpr_count:     18
    .sgpr_spill_count: 0
    .symbol:         _Z23fp32_router_gemm_kernelI14__hip_bfloat16Li128ELi10ELi256ELi3072EEvPfPKT_PKf.kd
    .uniform_work_group_size: 1
    .uses_dynamic_stack: false
    .vgpr_count:     100
    .vgpr_spill_count: 0
    .wavefront_size: 32
    .workgroup_processor_mode: 1
  - .args:
      - .address_space:  global
        .offset:         0
        .size:           8
        .value_kind:     global_buffer
      - .address_space:  global
        .offset:         8
        .size:           8
        .value_kind:     global_buffer
      - .address_space:  global
        .offset:         16
        .size:           8
        .value_kind:     global_buffer
    .group_segment_fixed_size: 176
    .kernarg_segment_align: 8
    .kernarg_segment_size: 24
    .language:       OpenCL C
    .language_version:
      - 2
      - 0
    .max_flat_workgroup_size: 128
    .name:           _Z23fp32_router_gemm_kernelI14__hip_bfloat16Li128ELi11ELi256ELi3072EEvPfPKT_PKf
    .private_segment_fixed_size: 0
    .sgpr_count:     18
    .sgpr_spill_count: 0
    .symbol:         _Z23fp32_router_gemm_kernelI14__hip_bfloat16Li128ELi11ELi256ELi3072EEvPfPKT_PKf.kd
    .uniform_work_group_size: 1
    .uses_dynamic_stack: false
    .vgpr_count:     109
    .vgpr_spill_count: 0
    .wavefront_size: 32
    .workgroup_processor_mode: 1
  - .args:
      - .address_space:  global
        .offset:         0
        .size:           8
        .value_kind:     global_buffer
      - .address_space:  global
        .offset:         8
        .size:           8
        .value_kind:     global_buffer
      - .address_space:  global
        .offset:         16
        .size:           8
        .value_kind:     global_buffer
    .group_segment_fixed_size: 192
    .kernarg_segment_align: 8
    .kernarg_segment_size: 24
    .language:       OpenCL C
    .language_version:
      - 2
      - 0
    .max_flat_workgroup_size: 128
    .name:           _Z23fp32_router_gemm_kernelI14__hip_bfloat16Li128ELi12ELi256ELi3072EEvPfPKT_PKf
    .private_segment_fixed_size: 0
    .sgpr_count:     18
    .sgpr_spill_count: 0
    .symbol:         _Z23fp32_router_gemm_kernelI14__hip_bfloat16Li128ELi12ELi256ELi3072EEvPfPKT_PKf.kd
    .uniform_work_group_size: 1
    .uses_dynamic_stack: false
    .vgpr_count:     121
    .vgpr_spill_count: 0
    .wavefront_size: 32
    .workgroup_processor_mode: 1
  - .args:
      - .address_space:  global
        .offset:         0
        .size:           8
        .value_kind:     global_buffer
      - .address_space:  global
        .offset:         8
        .size:           8
        .value_kind:     global_buffer
      - .address_space:  global
        .offset:         16
        .size:           8
        .value_kind:     global_buffer
    .group_segment_fixed_size: 208
    .kernarg_segment_align: 8
    .kernarg_segment_size: 24
    .language:       OpenCL C
    .language_version:
      - 2
      - 0
    .max_flat_workgroup_size: 128
    .name:           _Z23fp32_router_gemm_kernelI14__hip_bfloat16Li128ELi13ELi256ELi3072EEvPfPKT_PKf
    .private_segment_fixed_size: 0
    .sgpr_count:     18
    .sgpr_spill_count: 0
    .symbol:         _Z23fp32_router_gemm_kernelI14__hip_bfloat16Li128ELi13ELi256ELi3072EEvPfPKT_PKf.kd
    .uniform_work_group_size: 1
    .uses_dynamic_stack: false
    .vgpr_count:     127
    .vgpr_spill_count: 0
    .wavefront_size: 32
    .workgroup_processor_mode: 1
  - .args:
      - .address_space:  global
        .offset:         0
        .size:           8
        .value_kind:     global_buffer
      - .address_space:  global
        .offset:         8
        .size:           8
        .value_kind:     global_buffer
      - .address_space:  global
        .offset:         16
        .size:           8
        .value_kind:     global_buffer
    .group_segment_fixed_size: 224
    .kernarg_segment_align: 8
    .kernarg_segment_size: 24
    .language:       OpenCL C
    .language_version:
      - 2
      - 0
    .max_flat_workgroup_size: 128
    .name:           _Z23fp32_router_gemm_kernelI14__hip_bfloat16Li128ELi14ELi256ELi3072EEvPfPKT_PKf
    .private_segment_fixed_size: 0
    .sgpr_count:     18
    .sgpr_spill_count: 0
    .symbol:         _Z23fp32_router_gemm_kernelI14__hip_bfloat16Li128ELi14ELi256ELi3072EEvPfPKT_PKf.kd
    .uniform_work_group_size: 1
    .uses_dynamic_stack: false
    .vgpr_count:     136
    .vgpr_spill_count: 0
    .wavefront_size: 32
    .workgroup_processor_mode: 1
  - .args:
      - .address_space:  global
        .offset:         0
        .size:           8
        .value_kind:     global_buffer
      - .address_space:  global
        .offset:         8
        .size:           8
        .value_kind:     global_buffer
      - .address_space:  global
        .offset:         16
        .size:           8
        .value_kind:     global_buffer
    .group_segment_fixed_size: 240
    .kernarg_segment_align: 8
    .kernarg_segment_size: 24
    .language:       OpenCL C
    .language_version:
      - 2
      - 0
    .max_flat_workgroup_size: 128
    .name:           _Z23fp32_router_gemm_kernelI14__hip_bfloat16Li128ELi15ELi256ELi3072EEvPfPKT_PKf
    .private_segment_fixed_size: 0
    .sgpr_count:     18
    .sgpr_spill_count: 0
    .symbol:         _Z23fp32_router_gemm_kernelI14__hip_bfloat16Li128ELi15ELi256ELi3072EEvPfPKT_PKf.kd
    .uniform_work_group_size: 1
    .uses_dynamic_stack: false
    .vgpr_count:     147
    .vgpr_spill_count: 0
    .wavefront_size: 32
    .workgroup_processor_mode: 1
  - .args:
      - .address_space:  global
        .offset:         0
        .size:           8
        .value_kind:     global_buffer
      - .address_space:  global
        .offset:         8
        .size:           8
        .value_kind:     global_buffer
      - .address_space:  global
        .offset:         16
        .size:           8
        .value_kind:     global_buffer
    .group_segment_fixed_size: 256
    .kernarg_segment_align: 8
    .kernarg_segment_size: 24
    .language:       OpenCL C
    .language_version:
      - 2
      - 0
    .max_flat_workgroup_size: 128
    .name:           _Z23fp32_router_gemm_kernelI14__hip_bfloat16Li128ELi16ELi256ELi3072EEvPfPKT_PKf
    .private_segment_fixed_size: 0
    .sgpr_count:     18
    .sgpr_spill_count: 0
    .symbol:         _Z23fp32_router_gemm_kernelI14__hip_bfloat16Li128ELi16ELi256ELi3072EEvPfPKT_PKf.kd
    .uniform_work_group_size: 1
    .uses_dynamic_stack: false
    .vgpr_count:     154
    .vgpr_spill_count: 0
    .wavefront_size: 32
    .workgroup_processor_mode: 1
  - .args:
      - .address_space:  global
        .offset:         0
        .size:           8
        .value_kind:     global_buffer
      - .address_space:  global
        .offset:         8
        .size:           8
        .value_kind:     global_buffer
      - .address_space:  global
        .offset:         16
        .size:           8
        .value_kind:     global_buffer
    .group_segment_fixed_size: 272
    .kernarg_segment_align: 8
    .kernarg_segment_size: 24
    .language:       OpenCL C
    .language_version:
      - 2
      - 0
    .max_flat_workgroup_size: 128
    .name:           _Z23fp32_router_gemm_kernelI14__hip_bfloat16Li128ELi17ELi256ELi3072EEvPfPKT_PKf
    .private_segment_fixed_size: 0
    .sgpr_count:     18
    .sgpr_spill_count: 0
    .symbol:         _Z23fp32_router_gemm_kernelI14__hip_bfloat16Li128ELi17ELi256ELi3072EEvPfPKT_PKf.kd
    .uniform_work_group_size: 1
    .uses_dynamic_stack: false
    .vgpr_count:     94
    .vgpr_spill_count: 0
    .wavefront_size: 32
    .workgroup_processor_mode: 1
  - .args:
      - .address_space:  global
        .offset:         0
        .size:           8
        .value_kind:     global_buffer
      - .address_space:  global
        .offset:         8
        .size:           8
        .value_kind:     global_buffer
      - .address_space:  global
        .offset:         16
        .size:           8
        .value_kind:     global_buffer
    .group_segment_fixed_size: 288
    .kernarg_segment_align: 8
    .kernarg_segment_size: 24
    .language:       OpenCL C
    .language_version:
      - 2
      - 0
    .max_flat_workgroup_size: 128
    .name:           _Z23fp32_router_gemm_kernelI14__hip_bfloat16Li128ELi18ELi256ELi3072EEvPfPKT_PKf
    .private_segment_fixed_size: 0
    .sgpr_count:     18
    .sgpr_spill_count: 0
    .symbol:         _Z23fp32_router_gemm_kernelI14__hip_bfloat16Li128ELi18ELi256ELi3072EEvPfPKT_PKf.kd
    .uniform_work_group_size: 1
    .uses_dynamic_stack: false
    .vgpr_count:     174
    .vgpr_spill_count: 0
    .wavefront_size: 32
    .workgroup_processor_mode: 1
  - .args:
      - .address_space:  global
        .offset:         0
        .size:           8
        .value_kind:     global_buffer
      - .address_space:  global
        .offset:         8
        .size:           8
        .value_kind:     global_buffer
      - .address_space:  global
        .offset:         16
        .size:           8
        .value_kind:     global_buffer
    .group_segment_fixed_size: 304
    .kernarg_segment_align: 8
    .kernarg_segment_size: 24
    .language:       OpenCL C
    .language_version:
      - 2
      - 0
    .max_flat_workgroup_size: 128
    .name:           _Z23fp32_router_gemm_kernelI14__hip_bfloat16Li128ELi19ELi256ELi3072EEvPfPKT_PKf
    .private_segment_fixed_size: 0
    .sgpr_count:     18
    .sgpr_spill_count: 0
    .symbol:         _Z23fp32_router_gemm_kernelI14__hip_bfloat16Li128ELi19ELi256ELi3072EEvPfPKT_PKf.kd
    .uniform_work_group_size: 1
    .uses_dynamic_stack: false
    .vgpr_count:     183
    .vgpr_spill_count: 0
    .wavefront_size: 32
    .workgroup_processor_mode: 1
  - .args:
      - .address_space:  global
        .offset:         0
        .size:           8
        .value_kind:     global_buffer
      - .address_space:  global
        .offset:         8
        .size:           8
        .value_kind:     global_buffer
      - .address_space:  global
        .offset:         16
        .size:           8
        .value_kind:     global_buffer
    .group_segment_fixed_size: 320
    .kernarg_segment_align: 8
    .kernarg_segment_size: 24
    .language:       OpenCL C
    .language_version:
      - 2
      - 0
    .max_flat_workgroup_size: 128
    .name:           _Z23fp32_router_gemm_kernelI14__hip_bfloat16Li128ELi20ELi256ELi3072EEvPfPKT_PKf
    .private_segment_fixed_size: 0
    .sgpr_count:     18
    .sgpr_spill_count: 0
    .symbol:         _Z23fp32_router_gemm_kernelI14__hip_bfloat16Li128ELi20ELi256ELi3072EEvPfPKT_PKf.kd
    .uniform_work_group_size: 1
    .uses_dynamic_stack: false
    .vgpr_count:     192
    .vgpr_spill_count: 0
    .wavefront_size: 32
    .workgroup_processor_mode: 1
  - .args:
      - .address_space:  global
        .offset:         0
        .size:           8
        .value_kind:     global_buffer
      - .address_space:  global
        .offset:         8
        .size:           8
        .value_kind:     global_buffer
      - .address_space:  global
        .offset:         16
        .size:           8
        .value_kind:     global_buffer
    .group_segment_fixed_size: 336
    .kernarg_segment_align: 8
    .kernarg_segment_size: 24
    .language:       OpenCL C
    .language_version:
      - 2
      - 0
    .max_flat_workgroup_size: 128
    .name:           _Z23fp32_router_gemm_kernelI14__hip_bfloat16Li128ELi21ELi256ELi3072EEvPfPKT_PKf
    .private_segment_fixed_size: 0
    .sgpr_count:     18
    .sgpr_spill_count: 0
    .symbol:         _Z23fp32_router_gemm_kernelI14__hip_bfloat16Li128ELi21ELi256ELi3072EEvPfPKT_PKf.kd
    .uniform_work_group_size: 1
    .uses_dynamic_stack: false
    .vgpr_count:     201
    .vgpr_spill_count: 0
    .wavefront_size: 32
    .workgroup_processor_mode: 1
  - .args:
      - .address_space:  global
        .offset:         0
        .size:           8
        .value_kind:     global_buffer
      - .address_space:  global
        .offset:         8
        .size:           8
        .value_kind:     global_buffer
      - .address_space:  global
        .offset:         16
        .size:           8
        .value_kind:     global_buffer
    .group_segment_fixed_size: 352
    .kernarg_segment_align: 8
    .kernarg_segment_size: 24
    .language:       OpenCL C
    .language_version:
      - 2
      - 0
    .max_flat_workgroup_size: 128
    .name:           _Z23fp32_router_gemm_kernelI14__hip_bfloat16Li128ELi22ELi256ELi3072EEvPfPKT_PKf
    .private_segment_fixed_size: 0
    .sgpr_count:     18
    .sgpr_spill_count: 0
    .symbol:         _Z23fp32_router_gemm_kernelI14__hip_bfloat16Li128ELi22ELi256ELi3072EEvPfPKT_PKf.kd
    .uniform_work_group_size: 1
    .uses_dynamic_stack: false
    .vgpr_count:     124
    .vgpr_spill_count: 0
    .wavefront_size: 32
    .workgroup_processor_mode: 1
  - .args:
      - .address_space:  global
        .offset:         0
        .size:           8
        .value_kind:     global_buffer
      - .address_space:  global
        .offset:         8
        .size:           8
        .value_kind:     global_buffer
      - .address_space:  global
        .offset:         16
        .size:           8
        .value_kind:     global_buffer
    .group_segment_fixed_size: 368
    .kernarg_segment_align: 8
    .kernarg_segment_size: 24
    .language:       OpenCL C
    .language_version:
      - 2
      - 0
    .max_flat_workgroup_size: 128
    .name:           _Z23fp32_router_gemm_kernelI14__hip_bfloat16Li128ELi23ELi256ELi3072EEvPfPKT_PKf
    .private_segment_fixed_size: 0
    .sgpr_count:     18
    .sgpr_spill_count: 0
    .symbol:         _Z23fp32_router_gemm_kernelI14__hip_bfloat16Li128ELi23ELi256ELi3072EEvPfPKT_PKf.kd
    .uniform_work_group_size: 1
    .uses_dynamic_stack: false
    .vgpr_count:     219
    .vgpr_spill_count: 0
    .wavefront_size: 32
    .workgroup_processor_mode: 1
  - .args:
      - .address_space:  global
        .offset:         0
        .size:           8
        .value_kind:     global_buffer
      - .address_space:  global
        .offset:         8
        .size:           8
        .value_kind:     global_buffer
      - .address_space:  global
        .offset:         16
        .size:           8
        .value_kind:     global_buffer
    .group_segment_fixed_size: 384
    .kernarg_segment_align: 8
    .kernarg_segment_size: 24
    .language:       OpenCL C
    .language_version:
      - 2
      - 0
    .max_flat_workgroup_size: 128
    .name:           _Z23fp32_router_gemm_kernelI14__hip_bfloat16Li128ELi24ELi256ELi3072EEvPfPKT_PKf
    .private_segment_fixed_size: 0
    .sgpr_count:     18
    .sgpr_spill_count: 0
    .symbol:         _Z23fp32_router_gemm_kernelI14__hip_bfloat16Li128ELi24ELi256ELi3072EEvPfPKT_PKf.kd
    .uniform_work_group_size: 1
    .uses_dynamic_stack: false
    .vgpr_count:     228
    .vgpr_spill_count: 0
    .wavefront_size: 32
    .workgroup_processor_mode: 1
  - .args:
      - .address_space:  global
        .offset:         0
        .size:           8
        .value_kind:     global_buffer
      - .address_space:  global
        .offset:         8
        .size:           8
        .value_kind:     global_buffer
      - .address_space:  global
        .offset:         16
        .size:           8
        .value_kind:     global_buffer
    .group_segment_fixed_size: 400
    .kernarg_segment_align: 8
    .kernarg_segment_size: 24
    .language:       OpenCL C
    .language_version:
      - 2
      - 0
    .max_flat_workgroup_size: 128
    .name:           _Z23fp32_router_gemm_kernelI14__hip_bfloat16Li128ELi25ELi256ELi3072EEvPfPKT_PKf
    .private_segment_fixed_size: 0
    .sgpr_count:     18
    .sgpr_spill_count: 0
    .symbol:         _Z23fp32_router_gemm_kernelI14__hip_bfloat16Li128ELi25ELi256ELi3072EEvPfPKT_PKf.kd
    .uniform_work_group_size: 1
    .uses_dynamic_stack: false
    .vgpr_count:     237
    .vgpr_spill_count: 0
    .wavefront_size: 32
    .workgroup_processor_mode: 1
  - .args:
      - .address_space:  global
        .offset:         0
        .size:           8
        .value_kind:     global_buffer
      - .address_space:  global
        .offset:         8
        .size:           8
        .value_kind:     global_buffer
      - .address_space:  global
        .offset:         16
        .size:           8
        .value_kind:     global_buffer
    .group_segment_fixed_size: 416
    .kernarg_segment_align: 8
    .kernarg_segment_size: 24
    .language:       OpenCL C
    .language_version:
      - 2
      - 0
    .max_flat_workgroup_size: 128
    .name:           _Z23fp32_router_gemm_kernelI14__hip_bfloat16Li128ELi26ELi256ELi3072EEvPfPKT_PKf
    .private_segment_fixed_size: 0
    .sgpr_count:     18
    .sgpr_spill_count: 0
    .symbol:         _Z23fp32_router_gemm_kernelI14__hip_bfloat16Li128ELi26ELi256ELi3072EEvPfPKT_PKf.kd
    .uniform_work_group_size: 1
    .uses_dynamic_stack: false
    .vgpr_count:     246
    .vgpr_spill_count: 0
    .wavefront_size: 32
    .workgroup_processor_mode: 1
  - .args:
      - .address_space:  global
        .offset:         0
        .size:           8
        .value_kind:     global_buffer
      - .address_space:  global
        .offset:         8
        .size:           8
        .value_kind:     global_buffer
      - .address_space:  global
        .offset:         16
        .size:           8
        .value_kind:     global_buffer
    .group_segment_fixed_size: 432
    .kernarg_segment_align: 8
    .kernarg_segment_size: 24
    .language:       OpenCL C
    .language_version:
      - 2
      - 0
    .max_flat_workgroup_size: 128
    .name:           _Z23fp32_router_gemm_kernelI14__hip_bfloat16Li128ELi27ELi256ELi3072EEvPfPKT_PKf
    .private_segment_fixed_size: 0
    .sgpr_count:     18
    .sgpr_spill_count: 0
    .symbol:         _Z23fp32_router_gemm_kernelI14__hip_bfloat16Li128ELi27ELi256ELi3072EEvPfPKT_PKf.kd
    .uniform_work_group_size: 1
    .uses_dynamic_stack: false
    .vgpr_count:     255
    .vgpr_spill_count: 0
    .wavefront_size: 32
    .workgroup_processor_mode: 1
  - .args:
      - .address_space:  global
        .offset:         0
        .size:           8
        .value_kind:     global_buffer
      - .address_space:  global
        .offset:         8
        .size:           8
        .value_kind:     global_buffer
      - .address_space:  global
        .offset:         16
        .size:           8
        .value_kind:     global_buffer
    .group_segment_fixed_size: 448
    .kernarg_segment_align: 8
    .kernarg_segment_size: 24
    .language:       OpenCL C
    .language_version:
      - 2
      - 0
    .max_flat_workgroup_size: 128
    .name:           _Z23fp32_router_gemm_kernelI14__hip_bfloat16Li128ELi28ELi256ELi3072EEvPfPKT_PKf
    .private_segment_fixed_size: 40
    .sgpr_count:     18
    .sgpr_spill_count: 0
    .symbol:         _Z23fp32_router_gemm_kernelI14__hip_bfloat16Li128ELi28ELi256ELi3072EEvPfPKT_PKf.kd
    .uniform_work_group_size: 1
    .uses_dynamic_stack: false
    .vgpr_count:     256
    .vgpr_spill_count: 9
    .wavefront_size: 32
    .workgroup_processor_mode: 1
  - .args:
      - .address_space:  global
        .offset:         0
        .size:           8
        .value_kind:     global_buffer
      - .address_space:  global
        .offset:         8
        .size:           8
        .value_kind:     global_buffer
      - .address_space:  global
        .offset:         16
        .size:           8
        .value_kind:     global_buffer
    .group_segment_fixed_size: 464
    .kernarg_segment_align: 8
    .kernarg_segment_size: 24
    .language:       OpenCL C
    .language_version:
      - 2
      - 0
    .max_flat_workgroup_size: 128
    .name:           _Z23fp32_router_gemm_kernelI14__hip_bfloat16Li128ELi29ELi256ELi3072EEvPfPKT_PKf
    .private_segment_fixed_size: 80
    .sgpr_count:     18
    .sgpr_spill_count: 0
    .symbol:         _Z23fp32_router_gemm_kernelI14__hip_bfloat16Li128ELi29ELi256ELi3072EEvPfPKT_PKf.kd
    .uniform_work_group_size: 1
    .uses_dynamic_stack: false
    .vgpr_count:     256
    .vgpr_spill_count: 19
    .wavefront_size: 32
    .workgroup_processor_mode: 1
  - .args:
      - .address_space:  global
        .offset:         0
        .size:           8
        .value_kind:     global_buffer
      - .address_space:  global
        .offset:         8
        .size:           8
        .value_kind:     global_buffer
      - .address_space:  global
        .offset:         16
        .size:           8
        .value_kind:     global_buffer
    .group_segment_fixed_size: 480
    .kernarg_segment_align: 8
    .kernarg_segment_size: 24
    .language:       OpenCL C
    .language_version:
      - 2
      - 0
    .max_flat_workgroup_size: 128
    .name:           _Z23fp32_router_gemm_kernelI14__hip_bfloat16Li128ELi30ELi256ELi3072EEvPfPKT_PKf
    .private_segment_fixed_size: 116
    .sgpr_count:     18
    .sgpr_spill_count: 0
    .symbol:         _Z23fp32_router_gemm_kernelI14__hip_bfloat16Li128ELi30ELi256ELi3072EEvPfPKT_PKf.kd
    .uniform_work_group_size: 1
    .uses_dynamic_stack: false
    .vgpr_count:     256
    .vgpr_spill_count: 28
    .wavefront_size: 32
    .workgroup_processor_mode: 1
  - .args:
      - .address_space:  global
        .offset:         0
        .size:           8
        .value_kind:     global_buffer
      - .address_space:  global
        .offset:         8
        .size:           8
        .value_kind:     global_buffer
      - .address_space:  global
        .offset:         16
        .size:           8
        .value_kind:     global_buffer
    .group_segment_fixed_size: 496
    .kernarg_segment_align: 8
    .kernarg_segment_size: 24
    .language:       OpenCL C
    .language_version:
      - 2
      - 0
    .max_flat_workgroup_size: 128
    .name:           _Z23fp32_router_gemm_kernelI14__hip_bfloat16Li128ELi31ELi256ELi3072EEvPfPKT_PKf
    .private_segment_fixed_size: 0
    .sgpr_count:     18
    .sgpr_spill_count: 0
    .symbol:         _Z23fp32_router_gemm_kernelI14__hip_bfloat16Li128ELi31ELi256ELi3072EEvPfPKT_PKf.kd
    .uniform_work_group_size: 1
    .uses_dynamic_stack: false
    .vgpr_count:     167
    .vgpr_spill_count: 0
    .wavefront_size: 32
    .workgroup_processor_mode: 1
  - .args:
      - .address_space:  global
        .offset:         0
        .size:           8
        .value_kind:     global_buffer
      - .address_space:  global
        .offset:         8
        .size:           8
        .value_kind:     global_buffer
      - .address_space:  global
        .offset:         16
        .size:           8
        .value_kind:     global_buffer
    .group_segment_fixed_size: 512
    .kernarg_segment_align: 8
    .kernarg_segment_size: 24
    .language:       OpenCL C
    .language_version:
      - 2
      - 0
    .max_flat_workgroup_size: 128
    .name:           _Z23fp32_router_gemm_kernelI14__hip_bfloat16Li128ELi32ELi256ELi3072EEvPfPKT_PKf
    .private_segment_fixed_size: 184
    .sgpr_count:     18
    .sgpr_spill_count: 0
    .symbol:         _Z23fp32_router_gemm_kernelI14__hip_bfloat16Li128ELi32ELi256ELi3072EEvPfPKT_PKf.kd
    .uniform_work_group_size: 1
    .uses_dynamic_stack: false
    .vgpr_count:     256
    .vgpr_spill_count: 45
    .wavefront_size: 32
    .workgroup_processor_mode: 1
amdhsa.target:   amdgcn-amd-amdhsa--gfx1100
amdhsa.version:
  - 1
  - 2
...

	.end_amdgpu_metadata
